;; amdgpu-corpus repo=ROCm/rocFFT kind=compiled arch=gfx1201 opt=O3
	.text
	.amdgcn_target "amdgcn-amd-amdhsa--gfx1201"
	.amdhsa_code_object_version 6
	.protected	fft_rtc_fwd_len216_factors_2_6_9_2_wgs_144_tpt_18_dim3_sp_ip_CI_sbcc_twdbase8_2step_dirReg ; -- Begin function fft_rtc_fwd_len216_factors_2_6_9_2_wgs_144_tpt_18_dim3_sp_ip_CI_sbcc_twdbase8_2step_dirReg
	.globl	fft_rtc_fwd_len216_factors_2_6_9_2_wgs_144_tpt_18_dim3_sp_ip_CI_sbcc_twdbase8_2step_dirReg
	.p2align	8
	.type	fft_rtc_fwd_len216_factors_2_6_9_2_wgs_144_tpt_18_dim3_sp_ip_CI_sbcc_twdbase8_2step_dirReg,@function
fft_rtc_fwd_len216_factors_2_6_9_2_wgs_144_tpt_18_dim3_sp_ip_CI_sbcc_twdbase8_2step_dirReg: ; @fft_rtc_fwd_len216_factors_2_6_9_2_wgs_144_tpt_18_dim3_sp_ip_CI_sbcc_twdbase8_2step_dirReg
; %bb.0:
	s_load_b128 s[8:11], s[0:1], 0x10
	s_mov_b32 s14, ttmp9
	s_mov_b32 s15, 0
	s_mov_b64 s[18:19], 0
	s_wait_kmcnt 0x0
	s_load_b64 s[12:13], s[8:9], 0x8
	s_wait_kmcnt 0x0
	s_add_nc_u64 s[2:3], s[12:13], -1
	s_delay_alu instid0(SALU_CYCLE_1) | instskip(NEXT) | instid1(SALU_CYCLE_1)
	s_lshr_b64 s[2:3], s[2:3], 3
	s_add_nc_u64 s[16:17], s[2:3], 1
	s_delay_alu instid0(SALU_CYCLE_1) | instskip(NEXT) | instid1(VALU_DEP_1)
	v_cmp_lt_u64_e64 s2, s[14:15], s[16:17]
	s_and_b32 vcc_lo, exec_lo, s2
	s_cbranch_vccnz .LBB0_2
; %bb.1:
	v_cvt_f32_u32_e32 v1, s16
	s_sub_co_i32 s3, 0, s16
	s_mov_b32 s19, s15
	s_delay_alu instid0(VALU_DEP_1) | instskip(NEXT) | instid1(TRANS32_DEP_1)
	v_rcp_iflag_f32_e32 v1, v1
	v_mul_f32_e32 v1, 0x4f7ffffe, v1
	s_delay_alu instid0(VALU_DEP_1) | instskip(NEXT) | instid1(VALU_DEP_1)
	v_cvt_u32_f32_e32 v1, v1
	v_readfirstlane_b32 s2, v1
	s_delay_alu instid0(VALU_DEP_1) | instskip(NEXT) | instid1(SALU_CYCLE_1)
	s_mul_i32 s3, s3, s2
	s_mul_hi_u32 s3, s2, s3
	s_delay_alu instid0(SALU_CYCLE_1) | instskip(NEXT) | instid1(SALU_CYCLE_1)
	s_add_co_i32 s2, s2, s3
	s_mul_hi_u32 s2, s14, s2
	s_delay_alu instid0(SALU_CYCLE_1) | instskip(SKIP_2) | instid1(SALU_CYCLE_1)
	s_mul_i32 s3, s2, s16
	s_add_co_i32 s4, s2, 1
	s_sub_co_i32 s3, s14, s3
	s_sub_co_i32 s5, s3, s16
	s_cmp_ge_u32 s3, s16
	s_cselect_b32 s2, s4, s2
	s_cselect_b32 s3, s5, s3
	s_add_co_i32 s4, s2, 1
	s_cmp_ge_u32 s3, s16
	s_cselect_b32 s18, s4, s2
.LBB0_2:
	s_load_b64 s[2:3], s[8:9], 0x10
	s_mov_b64 s[8:9], s[18:19]
	s_wait_kmcnt 0x0
	v_cmp_lt_u64_e64 s4, s[18:19], s[2:3]
	s_delay_alu instid0(VALU_DEP_1)
	s_and_b32 vcc_lo, exec_lo, s4
	s_cbranch_vccnz .LBB0_4
; %bb.3:
	v_cvt_f32_u32_e32 v1, s2
	s_sub_co_i32 s5, 0, s2
	s_mov_b32 s9, 0
	s_delay_alu instid0(VALU_DEP_1) | instskip(NEXT) | instid1(TRANS32_DEP_1)
	v_rcp_iflag_f32_e32 v1, v1
	v_mul_f32_e32 v1, 0x4f7ffffe, v1
	s_delay_alu instid0(VALU_DEP_1) | instskip(NEXT) | instid1(VALU_DEP_1)
	v_cvt_u32_f32_e32 v1, v1
	v_readfirstlane_b32 s4, v1
	s_delay_alu instid0(VALU_DEP_1) | instskip(NEXT) | instid1(SALU_CYCLE_1)
	s_mul_i32 s5, s5, s4
	s_mul_hi_u32 s5, s4, s5
	s_delay_alu instid0(SALU_CYCLE_1) | instskip(NEXT) | instid1(SALU_CYCLE_1)
	s_add_co_i32 s4, s4, s5
	s_mul_hi_u32 s4, s18, s4
	s_delay_alu instid0(SALU_CYCLE_1) | instskip(NEXT) | instid1(SALU_CYCLE_1)
	s_mul_i32 s4, s4, s2
	s_sub_co_i32 s4, s18, s4
	s_delay_alu instid0(SALU_CYCLE_1) | instskip(SKIP_2) | instid1(SALU_CYCLE_1)
	s_sub_co_i32 s5, s4, s2
	s_cmp_ge_u32 s4, s2
	s_cselect_b32 s4, s5, s4
	s_sub_co_i32 s5, s4, s2
	s_cmp_ge_u32 s4, s2
	s_cselect_b32 s8, s5, s4
.LBB0_4:
	s_clause 0x1
	s_load_b128 s[4:7], s[10:11], 0x0
	s_load_b64 s[20:21], s[10:11], 0x10
	s_mul_u64 s[2:3], s[2:3], s[16:17]
	s_mov_b64 s[22:23], 0
	s_wait_alu 0xfffe
	v_cmp_lt_u64_e64 s3, s[14:15], s[2:3]
	s_delay_alu instid0(VALU_DEP_1)
	s_and_b32 vcc_lo, exec_lo, s3
	s_cbranch_vccnz .LBB0_6
; %bb.5:
	v_cvt_f32_u32_e32 v1, s2
	s_sub_co_i32 s22, 0, s2
	s_delay_alu instid0(VALU_DEP_1) | instskip(NEXT) | instid1(TRANS32_DEP_1)
	v_rcp_iflag_f32_e32 v1, v1
	v_mul_f32_e32 v1, 0x4f7ffffe, v1
	s_delay_alu instid0(VALU_DEP_1) | instskip(NEXT) | instid1(VALU_DEP_1)
	v_cvt_u32_f32_e32 v1, v1
	v_readfirstlane_b32 s3, v1
	s_delay_alu instid0(VALU_DEP_1) | instskip(NEXT) | instid1(SALU_CYCLE_1)
	s_mul_i32 s22, s22, s3
	s_mul_hi_u32 s22, s3, s22
	s_delay_alu instid0(SALU_CYCLE_1)
	s_add_co_i32 s3, s3, s22
	s_wait_alu 0xfffe
	s_mul_hi_u32 s3, s14, s3
	s_wait_alu 0xfffe
	s_mul_i32 s22, s3, s2
	s_add_co_i32 s23, s3, 1
	s_sub_co_i32 s22, s14, s22
	s_delay_alu instid0(SALU_CYCLE_1)
	s_sub_co_i32 s24, s22, s2
	s_cmp_ge_u32 s22, s2
	s_cselect_b32 s3, s23, s3
	s_cselect_b32 s22, s24, s22
	s_wait_alu 0xfffe
	s_add_co_i32 s24, s3, 1
	s_cmp_ge_u32 s22, s2
	s_mov_b32 s23, 0
	s_cselect_b32 s22, s24, s3
.LBB0_6:
	s_load_b64 s[24:25], s[10:11], 0x18
	s_clause 0x1
	s_load_b64 s[10:11], s[0:1], 0x0
	s_load_b64 s[2:3], s[0:1], 0x50
	s_mul_u64 s[16:17], s[18:19], s[16:17]
	s_wait_kmcnt 0x0
	s_mul_u64 s[8:9], s[20:21], s[8:9]
	s_wait_alu 0xfffe
	s_sub_nc_u64 s[14:15], s[14:15], s[16:17]
	v_lshrrev_b32_e32 v44, 3, v0
	s_wait_alu 0xfffe
	s_lshl_b64 s[14:15], s[14:15], 3
	s_wait_alu 0xfffe
	v_dual_mov_b32 v34, s15 :: v_dual_and_b32 v39, 7, v0
	s_add_nc_u64 s[16:17], s[14:15], 8
	s_mul_u64 s[18:19], s[6:7], s[14:15]
	s_wait_alu 0xfffe
	v_cmp_gt_u64_e64 s20, s[16:17], s[12:13]
	v_or_b32_e32 v33, s14, v39
	v_cmp_le_u64_e64 s14, s[16:17], s[12:13]
	s_add_nc_u64 s[8:9], s[8:9], s[18:19]
	s_delay_alu instid0(VALU_DEP_3)
	s_and_b32 vcc_lo, exec_lo, s20
	s_mul_u64 s[16:17], s[24:25], s[22:23]
	s_wait_alu 0xfffe
	s_add_nc_u64 s[8:9], s[16:17], s[8:9]
	s_cbranch_vccz .LBB0_12
; %bb.7:
	s_mov_b32 s15, exec_lo
                                        ; implicit-def: $vgpr40
                                        ; implicit-def: $vgpr43
                                        ; implicit-def: $vgpr45
                                        ; implicit-def: $vgpr41
                                        ; implicit-def: $vgpr42
	v_cmpx_le_u64_e64 s[12:13], v[33:34]
	s_wait_alu 0xfffe
	s_xor_b32 s15, exec_lo, s15
; %bb.8:
	v_add_nc_u32_e32 v40, 18, v44
	v_add_nc_u32_e32 v43, 36, v44
	;; [unrolled: 1-line block ×5, first 2 shown]
; %bb.9:
	s_wait_alu 0xfffe
	s_or_saveexec_b32 s15, s15
                                        ; implicit-def: $vgpr15
                                        ; implicit-def: $vgpr17
                                        ; implicit-def: $vgpr13
                                        ; implicit-def: $vgpr9
                                        ; implicit-def: $vgpr19
                                        ; implicit-def: $vgpr11
                                        ; implicit-def: $vgpr21
                                        ; implicit-def: $vgpr23
                                        ; implicit-def: $vgpr3
                                        ; implicit-def: $vgpr1
                                        ; implicit-def: $vgpr7
                                        ; implicit-def: $vgpr5
	s_wait_alu 0xfffe
	s_xor_b32 exec_lo, exec_lo, s15
	s_cbranch_execz .LBB0_11
; %bb.10:
	v_mad_co_u64_u32 v[1:2], null, s6, v39, 0
	v_mad_co_u64_u32 v[3:4], null, s4, v44, 0
	s_lshl_b64 s[16:17], s[8:9], 3
	v_add_nc_u32_e32 v43, 36, v44
	s_wait_alu 0xfffe
	s_add_nc_u64 s[16:17], s[2:3], s[16:17]
	v_add_nc_u32_e32 v45, 54, v44
	v_add_nc_u32_e32 v41, 0x48, v44
	;; [unrolled: 1-line block ×3, first 2 shown]
	v_mad_co_u64_u32 v[5:6], null, s7, v39, v[2:3]
	v_add_nc_u32_e32 v13, 0x6c, v44
	v_mad_co_u64_u32 v[18:19], null, s4, v45, 0
	v_add_nc_u32_e32 v20, 0x90, v44
	v_add_nc_u32_e32 v42, 0x5a, v44
	v_add_nc_u32_e32 v30, 0xc6, v44
	v_mov_b32_e32 v2, v5
	v_mad_co_u64_u32 v[6:7], null, s4, v13, 0
	v_add_nc_u32_e32 v40, 18, v44
	v_mad_co_u64_u32 v[10:11], null, s5, v44, v[4:5]
	v_add_nc_u32_e32 v15, 0x7e, v44
	v_lshlrev_b64_e32 v[1:2], 3, v[1:2]
	v_mad_co_u64_u32 v[23:24], null, s4, v42, 0
	v_mov_b32_e32 v5, v7
	v_mad_co_u64_u32 v[8:9], null, s4, v40, 0
	v_mov_b32_e32 v4, v10
	v_mad_co_u64_u32 v[11:12], null, s4, v15, 0
	s_wait_alu 0xfffe
	v_add_co_u32 v32, vcc_lo, s16, v1
	s_delay_alu instid0(VALU_DEP_3) | instskip(SKIP_3) | instid1(VALU_DEP_3)
	v_lshlrev_b64_e32 v[3:4], 3, v[3:4]
	v_mov_b32_e32 v7, v9
	v_mad_co_u64_u32 v[9:10], null, s5, v13, v[5:6]
	v_add_co_ci_u32_e32 v36, vcc_lo, s17, v2, vcc_lo
	v_mad_co_u64_u32 v[13:14], null, s5, v40, v[7:8]
	v_add_co_u32 v1, vcc_lo, v32, v3
	s_delay_alu instid0(VALU_DEP_4)
	v_mov_b32_e32 v7, v9
	s_wait_alu 0xfffd
	v_add_co_ci_u32_e32 v2, vcc_lo, v36, v4, vcc_lo
	v_mov_b32_e32 v3, v12
	v_mov_b32_e32 v9, v13
	v_lshlrev_b64_e32 v[4:5], 3, v[6:7]
	s_delay_alu instid0(VALU_DEP_1) | instskip(NEXT) | instid1(VALU_DEP_3)
	v_mad_co_u64_u32 v[6:7], null, s5, v15, v[3:4]
	v_lshlrev_b64_e32 v[7:8], 3, v[8:9]
	v_mad_co_u64_u32 v[9:10], null, s4, v43, 0
	v_add_co_u32 v3, vcc_lo, v32, v4
	s_wait_alu 0xfffd
	v_add_co_ci_u32_e32 v4, vcc_lo, v36, v5, vcc_lo
	v_mov_b32_e32 v12, v6
	v_add_co_u32 v13, vcc_lo, v32, v7
	v_mov_b32_e32 v5, v10
	s_wait_alu 0xfffd
	v_add_co_ci_u32_e32 v14, vcc_lo, v36, v8, vcc_lo
	v_lshlrev_b64_e32 v[6:7], 3, v[11:12]
	v_mad_co_u64_u32 v[11:12], null, s4, v20, 0
	s_delay_alu instid0(VALU_DEP_2) | instskip(SKIP_1) | instid1(VALU_DEP_3)
	v_mad_co_u64_u32 v[15:16], null, s5, v43, v[5:6]
	v_add_co_u32 v16, vcc_lo, v32, v6
	v_mov_b32_e32 v5, v12
	s_wait_alu 0xfffd
	v_add_co_ci_u32_e32 v17, vcc_lo, v36, v7, vcc_lo
	s_delay_alu instid0(VALU_DEP_4) | instskip(NEXT) | instid1(VALU_DEP_3)
	v_mov_b32_e32 v10, v15
	v_mad_co_u64_u32 v[20:21], null, s5, v20, v[5:6]
	s_clause 0x3
	global_load_b64 v[5:6], v[1:2], off
	global_load_b64 v[7:8], v[3:4], off
	;; [unrolled: 1-line block ×4, first 2 shown]
	v_mov_b32_e32 v13, v19
	v_add_nc_u32_e32 v21, 0xa2, v44
	v_mad_co_u64_u32 v[16:17], null, s4, v41, 0
	v_lshlrev_b64_e32 v[9:10], 3, v[9:10]
	s_delay_alu instid0(VALU_DEP_4) | instskip(NEXT) | instid1(VALU_DEP_4)
	v_mad_co_u64_u32 v[13:14], null, s5, v45, v[13:14]
	v_mad_co_u64_u32 v[14:15], null, s4, v21, 0
	v_mov_b32_e32 v12, v20
	s_delay_alu instid0(VALU_DEP_4)
	v_add_co_u32 v9, vcc_lo, v32, v9
	s_wait_alu 0xfffd
	v_add_co_ci_u32_e32 v10, vcc_lo, v36, v10, vcc_lo
	v_mov_b32_e32 v19, v13
	v_mov_b32_e32 v13, v15
	v_lshlrev_b64_e32 v[11:12], 3, v[11:12]
	s_delay_alu instid0(VALU_DEP_2)
	v_mad_co_u64_u32 v[20:21], null, s5, v21, v[13:14]
	v_mad_co_u64_u32 v[21:22], null, s4, v25, 0
	v_mov_b32_e32 v13, v17
	v_lshlrev_b64_e32 v[17:18], 3, v[18:19]
	v_add_co_u32 v11, vcc_lo, v32, v11
	v_mov_b32_e32 v15, v20
	s_delay_alu instid0(VALU_DEP_4) | instskip(SKIP_4) | instid1(VALU_DEP_3)
	v_mad_co_u64_u32 v[19:20], null, s5, v41, v[13:14]
	v_mov_b32_e32 v13, v22
	s_wait_alu 0xfffd
	v_add_co_ci_u32_e32 v12, vcc_lo, v36, v12, vcc_lo
	v_add_co_u32 v28, vcc_lo, v32, v17
	v_mad_co_u64_u32 v[25:26], null, s5, v25, v[13:14]
	v_lshlrev_b64_e32 v[14:15], 3, v[14:15]
	v_mov_b32_e32 v13, v24
	v_mad_co_u64_u32 v[26:27], null, s4, v30, 0
	v_mov_b32_e32 v17, v19
	s_wait_alu 0xfffd
	v_add_co_ci_u32_e32 v29, vcc_lo, v36, v18, vcc_lo
	v_mad_co_u64_u32 v[18:19], null, s5, v42, v[13:14]
	v_add_co_u32 v19, vcc_lo, v32, v14
	s_wait_alu 0xfffd
	v_add_co_ci_u32_e32 v20, vcc_lo, v36, v15, vcc_lo
	v_lshlrev_b64_e32 v[14:15], 3, v[16:17]
	v_dual_mov_b32 v13, v27 :: v_dual_mov_b32 v22, v25
	v_mov_b32_e32 v24, v18
	s_delay_alu instid0(VALU_DEP_2) | instskip(NEXT) | instid1(VALU_DEP_3)
	v_mad_co_u64_u32 v[16:17], null, s5, v30, v[13:14]
	v_lshlrev_b64_e32 v[21:22], 3, v[21:22]
	v_add_co_u32 v13, vcc_lo, v32, v14
	s_delay_alu instid0(VALU_DEP_4)
	v_lshlrev_b64_e32 v[17:18], 3, v[23:24]
	s_wait_alu 0xfffd
	v_add_co_ci_u32_e32 v14, vcc_lo, v36, v15, vcc_lo
	v_mov_b32_e32 v27, v16
	v_add_co_u32 v30, vcc_lo, v32, v21
	s_wait_alu 0xfffd
	v_add_co_ci_u32_e32 v31, vcc_lo, v36, v22, vcc_lo
	s_delay_alu instid0(VALU_DEP_3) | instskip(SKIP_3) | instid1(VALU_DEP_3)
	v_lshlrev_b64_e32 v[15:16], 3, v[26:27]
	v_add_co_u32 v25, vcc_lo, v32, v17
	s_wait_alu 0xfffd
	v_add_co_ci_u32_e32 v26, vcc_lo, v36, v18, vcc_lo
	v_add_co_u32 v35, vcc_lo, v32, v15
	s_wait_alu 0xfffd
	v_add_co_ci_u32_e32 v36, vcc_lo, v36, v16, vcc_lo
	s_clause 0x7
	global_load_b64 v[23:24], v[9:10], off
	global_load_b64 v[15:16], v[11:12], off
	;; [unrolled: 1-line block ×8, first 2 shown]
.LBB0_11:
	s_or_b32 exec_lo, exec_lo, s15
	s_cbranch_execz .LBB0_13
	s_branch .LBB0_14
.LBB0_12:
                                        ; implicit-def: $vgpr15
                                        ; implicit-def: $vgpr17
                                        ; implicit-def: $vgpr13
                                        ; implicit-def: $vgpr9
                                        ; implicit-def: $vgpr19
                                        ; implicit-def: $vgpr11
                                        ; implicit-def: $vgpr21
                                        ; implicit-def: $vgpr23
                                        ; implicit-def: $vgpr3
                                        ; implicit-def: $vgpr1
                                        ; implicit-def: $vgpr7
                                        ; implicit-def: $vgpr5
                                        ; implicit-def: $vgpr40
                                        ; implicit-def: $vgpr43
                                        ; implicit-def: $vgpr45
                                        ; implicit-def: $vgpr41
                                        ; implicit-def: $vgpr42
.LBB0_13:
	s_wait_loadcnt 0x9
	v_mad_co_u64_u32 v[1:2], null, s6, v39, 0
	s_wait_loadcnt 0x8
	v_mad_co_u64_u32 v[3:4], null, s4, v44, 0
	s_lshl_b64 s[16:17], s[8:9], 3
	v_add_nc_u32_e32 v43, 36, v44
	s_wait_alu 0xfffe
	s_add_nc_u64 s[16:17], s[2:3], s[16:17]
	v_add_nc_u32_e32 v45, 54, v44
	v_add_nc_u32_e32 v41, 0x48, v44
	;; [unrolled: 1-line block ×3, first 2 shown]
	v_mad_co_u64_u32 v[5:6], null, s7, v39, v[2:3]
	s_wait_loadcnt 0x0
	v_add_nc_u32_e32 v13, 0x6c, v44
	v_mad_co_u64_u32 v[18:19], null, s4, v45, 0
	v_add_nc_u32_e32 v20, 0x90, v44
	v_add_nc_u32_e32 v42, 0x5a, v44
	;; [unrolled: 1-line block ×3, first 2 shown]
	v_mov_b32_e32 v2, v5
	v_mad_co_u64_u32 v[6:7], null, s4, v13, 0
	v_add_nc_u32_e32 v40, 18, v44
	v_mad_co_u64_u32 v[10:11], null, s5, v44, v[4:5]
	v_add_nc_u32_e32 v15, 0x7e, v44
	v_lshlrev_b64_e32 v[1:2], 3, v[1:2]
	v_mad_co_u64_u32 v[23:24], null, s4, v42, 0
	v_mov_b32_e32 v5, v7
	v_mad_co_u64_u32 v[8:9], null, s4, v40, 0
	v_mov_b32_e32 v4, v10
	v_mad_co_u64_u32 v[11:12], null, s4, v15, 0
	s_wait_alu 0xfffe
	v_add_co_u32 v32, vcc_lo, s16, v1
	s_delay_alu instid0(VALU_DEP_3) | instskip(SKIP_4) | instid1(VALU_DEP_3)
	v_lshlrev_b64_e32 v[3:4], 3, v[3:4]
	v_mov_b32_e32 v7, v9
	v_mad_co_u64_u32 v[9:10], null, s5, v13, v[5:6]
	s_wait_alu 0xfffd
	v_add_co_ci_u32_e32 v36, vcc_lo, s17, v2, vcc_lo
	v_mad_co_u64_u32 v[13:14], null, s5, v40, v[7:8]
	v_add_co_u32 v1, vcc_lo, v32, v3
	s_delay_alu instid0(VALU_DEP_4)
	v_mov_b32_e32 v7, v9
	s_wait_alu 0xfffd
	v_add_co_ci_u32_e32 v2, vcc_lo, v36, v4, vcc_lo
	v_mov_b32_e32 v3, v12
	v_mov_b32_e32 v9, v13
	v_lshlrev_b64_e32 v[4:5], 3, v[6:7]
	s_delay_alu instid0(VALU_DEP_1) | instskip(NEXT) | instid1(VALU_DEP_3)
	v_mad_co_u64_u32 v[6:7], null, s5, v15, v[3:4]
	v_lshlrev_b64_e32 v[7:8], 3, v[8:9]
	v_mad_co_u64_u32 v[9:10], null, s4, v43, 0
	v_add_co_u32 v3, vcc_lo, v32, v4
	s_wait_alu 0xfffd
	v_add_co_ci_u32_e32 v4, vcc_lo, v36, v5, vcc_lo
	v_mov_b32_e32 v12, v6
	v_add_co_u32 v13, vcc_lo, v32, v7
	v_mov_b32_e32 v5, v10
	s_wait_alu 0xfffd
	v_add_co_ci_u32_e32 v14, vcc_lo, v36, v8, vcc_lo
	v_lshlrev_b64_e32 v[6:7], 3, v[11:12]
	v_mad_co_u64_u32 v[11:12], null, s4, v20, 0
	s_delay_alu instid0(VALU_DEP_2) | instskip(SKIP_1) | instid1(VALU_DEP_3)
	v_mad_co_u64_u32 v[15:16], null, s5, v43, v[5:6]
	v_add_co_u32 v16, vcc_lo, v32, v6
	v_mov_b32_e32 v5, v12
	s_wait_alu 0xfffd
	v_add_co_ci_u32_e32 v17, vcc_lo, v36, v7, vcc_lo
	s_delay_alu instid0(VALU_DEP_4) | instskip(NEXT) | instid1(VALU_DEP_3)
	v_mov_b32_e32 v10, v15
	v_mad_co_u64_u32 v[20:21], null, s5, v20, v[5:6]
	s_clause 0x3
	global_load_b64 v[5:6], v[1:2], off
	global_load_b64 v[7:8], v[3:4], off
	;; [unrolled: 1-line block ×4, first 2 shown]
	v_mov_b32_e32 v13, v19
	v_add_nc_u32_e32 v21, 0xa2, v44
	v_mad_co_u64_u32 v[16:17], null, s4, v41, 0
	v_lshlrev_b64_e32 v[9:10], 3, v[9:10]
	s_delay_alu instid0(VALU_DEP_4) | instskip(NEXT) | instid1(VALU_DEP_4)
	v_mad_co_u64_u32 v[13:14], null, s5, v45, v[13:14]
	v_mad_co_u64_u32 v[14:15], null, s4, v21, 0
	v_mov_b32_e32 v12, v20
	s_delay_alu instid0(VALU_DEP_4)
	v_add_co_u32 v9, vcc_lo, v32, v9
	s_wait_alu 0xfffd
	v_add_co_ci_u32_e32 v10, vcc_lo, v36, v10, vcc_lo
	v_mov_b32_e32 v19, v13
	v_mov_b32_e32 v13, v15
	v_lshlrev_b64_e32 v[11:12], 3, v[11:12]
	s_delay_alu instid0(VALU_DEP_2)
	v_mad_co_u64_u32 v[20:21], null, s5, v21, v[13:14]
	v_mad_co_u64_u32 v[21:22], null, s4, v25, 0
	v_mov_b32_e32 v13, v17
	v_lshlrev_b64_e32 v[17:18], 3, v[18:19]
	v_add_co_u32 v11, vcc_lo, v32, v11
	v_mov_b32_e32 v15, v20
	s_delay_alu instid0(VALU_DEP_4) | instskip(SKIP_4) | instid1(VALU_DEP_3)
	v_mad_co_u64_u32 v[19:20], null, s5, v41, v[13:14]
	v_mov_b32_e32 v13, v22
	s_wait_alu 0xfffd
	v_add_co_ci_u32_e32 v12, vcc_lo, v36, v12, vcc_lo
	v_add_co_u32 v28, vcc_lo, v32, v17
	v_mad_co_u64_u32 v[25:26], null, s5, v25, v[13:14]
	v_lshlrev_b64_e32 v[14:15], 3, v[14:15]
	v_mov_b32_e32 v13, v24
	v_mad_co_u64_u32 v[26:27], null, s4, v30, 0
	v_mov_b32_e32 v17, v19
	s_wait_alu 0xfffd
	v_add_co_ci_u32_e32 v29, vcc_lo, v36, v18, vcc_lo
	v_mad_co_u64_u32 v[18:19], null, s5, v42, v[13:14]
	v_add_co_u32 v19, vcc_lo, v32, v14
	s_wait_alu 0xfffd
	v_add_co_ci_u32_e32 v20, vcc_lo, v36, v15, vcc_lo
	v_lshlrev_b64_e32 v[14:15], 3, v[16:17]
	v_dual_mov_b32 v13, v27 :: v_dual_mov_b32 v22, v25
	v_mov_b32_e32 v24, v18
	s_delay_alu instid0(VALU_DEP_2) | instskip(NEXT) | instid1(VALU_DEP_3)
	v_mad_co_u64_u32 v[16:17], null, s5, v30, v[13:14]
	v_lshlrev_b64_e32 v[21:22], 3, v[21:22]
	v_add_co_u32 v13, vcc_lo, v32, v14
	s_delay_alu instid0(VALU_DEP_4)
	v_lshlrev_b64_e32 v[17:18], 3, v[23:24]
	s_wait_alu 0xfffd
	v_add_co_ci_u32_e32 v14, vcc_lo, v36, v15, vcc_lo
	v_mov_b32_e32 v27, v16
	v_add_co_u32 v30, vcc_lo, v32, v21
	s_wait_alu 0xfffd
	v_add_co_ci_u32_e32 v31, vcc_lo, v36, v22, vcc_lo
	s_delay_alu instid0(VALU_DEP_3) | instskip(SKIP_3) | instid1(VALU_DEP_3)
	v_lshlrev_b64_e32 v[15:16], 3, v[26:27]
	v_add_co_u32 v25, vcc_lo, v32, v17
	s_wait_alu 0xfffd
	v_add_co_ci_u32_e32 v26, vcc_lo, v36, v18, vcc_lo
	v_add_co_u32 v35, vcc_lo, v32, v15
	s_wait_alu 0xfffd
	v_add_co_ci_u32_e32 v36, vcc_lo, v36, v16, vcc_lo
	s_clause 0x7
	global_load_b64 v[23:24], v[9:10], off
	global_load_b64 v[15:16], v[11:12], off
	;; [unrolled: 1-line block ×8, first 2 shown]
.LBB0_14:
	s_wait_loadcnt 0xa
	v_dual_sub_f32 v7, v5, v7 :: v_dual_sub_f32 v8, v6, v8
	s_wait_loadcnt 0x0
	v_dual_sub_f32 v14, v10, v14 :: v_dual_lshlrev_b32 v25, 7, v44
	v_dual_sub_f32 v13, v9, v13 :: v_dual_lshlrev_b32 v46, 3, v39
	v_dual_sub_f32 v3, v1, v3 :: v_dual_sub_f32 v4, v2, v4
	v_lshlrev_b32_e32 v26, 7, v40
	v_fma_f32 v5, v5, 2.0, -v7
	v_fma_f32 v6, v6, 2.0, -v8
	v_add3_u32 v25, 0, v25, v46
	v_fma_f32 v1, v1, 2.0, -v3
	v_fma_f32 v2, v2, 2.0, -v4
	v_add3_u32 v26, 0, v26, v46
	v_dual_sub_f32 v15, v23, v15 :: v_dual_sub_f32 v16, v24, v16
	ds_store_2addr_b64 v25, v[5:6], v[7:8] offset1:8
	ds_store_2addr_b64 v26, v[1:2], v[3:4] offset1:8
	v_lshlrev_b32_e32 v1, 7, v43
	v_lshlrev_b32_e32 v3, 7, v41
	v_bfe_u32 v27, v0, 3, 1
	v_dual_sub_f32 v17, v21, v17 :: v_dual_sub_f32 v18, v22, v18
	v_dual_sub_f32 v19, v11, v19 :: v_dual_lshlrev_b32 v2, 7, v45
	v_sub_f32_e32 v20, v12, v20
	v_lshlrev_b32_e32 v4, 7, v42
	v_fma_f32 v23, v23, 2.0, -v15
	v_fma_f32 v24, v24, 2.0, -v16
	v_add3_u32 v26, 0, v1, v46
	v_add3_u32 v28, 0, v3, v46
	v_mul_u32_u24_e32 v3, 5, v27
	v_fma_f32 v21, v21, 2.0, -v17
	v_fma_f32 v22, v22, 2.0, -v18
	v_add3_u32 v1, 0, v2, v46
	v_fma_f32 v11, v11, 2.0, -v19
	v_fma_f32 v12, v12, 2.0, -v20
	;; [unrolled: 1-line block ×4, first 2 shown]
	v_add3_u32 v2, 0, v4, v46
	ds_store_2addr_b64 v26, v[23:24], v[15:16] offset1:8
	ds_store_2addr_b64 v1, v[21:22], v[17:18] offset1:8
	;; [unrolled: 1-line block ×4, first 2 shown]
	v_lshlrev_b32_e32 v9, 3, v3
	global_wb scope:SCOPE_SE
	s_wait_dscnt 0x0
	s_barrier_signal -1
	s_barrier_wait -1
	global_inv scope:SCOPE_SE
	s_clause 0x2
	global_load_b128 v[1:4], v9, s[10:11]
	global_load_b128 v[5:8], v9, s[10:11] offset:16
	global_load_b64 v[21:22], v9, s[10:11] offset:32
	v_lshlrev_b32_e32 v9, 6, v44
	v_lshlrev_b32_e32 v10, 6, v40
	v_lshrrev_b32_e32 v11, 4, v0
	v_lshlrev_b32_e32 v12, 6, v43
	v_lshlrev_b32_e32 v13, 6, v41
	v_sub_nc_u32_e32 v47, v25, v9
	v_add3_u32 v50, 0, v10, v46
	v_mul_u32_u24_e32 v10, 12, v11
	v_sub_nc_u32_e32 v48, v26, v12
	v_sub_nc_u32_e32 v49, v28, v13
	v_add_nc_u32_e32 v9, 0x1400, v47
	v_lshrrev_b32_e32 v14, 1, v40
	v_or_b32_e32 v37, v10, v27
	ds_load_b64 v[23:24], v48
	ds_load_b64 v[25:26], v49
	ds_load_2addr_b64 v[9:12], v9 offset0:80 offset1:224
	v_mul_lo_u32 v14, v14, 12
	v_add_nc_u32_e32 v13, 0x1e00, v47
	v_add_nc_u32_e32 v17, 0x2800, v47
	v_cmp_gt_u32_e32 vcc_lo, 48, v0
	s_delay_alu instid0(VALU_DEP_4) | instskip(NEXT) | instid1(VALU_DEP_1)
	v_or_b32_e32 v38, v14, v27
	v_lshlrev_b32_e32 v38, 6, v38
	s_wait_loadcnt_dscnt 0x201
	v_mul_f32_e32 v53, v4, v26
	s_wait_loadcnt_dscnt 0x100
	v_dual_mul_f32 v55, v6, v12 :: v_dual_mul_f32 v54, v4, v25
	v_mul_f32_e32 v62, v10, v4
	v_mul_f32_e32 v4, v9, v4
	ds_load_2addr_b64 v[13:16], v13 offset0:48 offset1:192
	ds_load_b64 v[27:28], v50
	ds_load_2addr_b64 v[17:20], v17 offset0:16 offset1:160
	ds_load_b64 v[29:30], v47
	ds_load_b64 v[31:32], v47 offset:3456
	ds_load_b64 v[35:36], v47 offset:12672
	v_mul_f32_e32 v51, v2, v24
	v_dual_mul_f32 v52, v2, v23 :: v_dual_lshlrev_b32 v37, 6, v37
	v_mul_f32_e32 v56, v6, v11
	v_fma_f32 v11, v5, v11, -v55
	s_delay_alu instid0(VALU_DEP_4)
	v_fma_f32 v23, v1, v23, -v51
	v_add3_u32 v38, 0, v38, v46
	global_wb scope:SCOPE_SE
	s_wait_loadcnt_dscnt 0x0
	s_barrier_signal -1
	s_barrier_wait -1
	global_inv scope:SCOPE_SE
	v_mul_f32_e32 v57, v8, v16
	v_mul_f32_e32 v58, v8, v15
	;; [unrolled: 1-line block ×8, first 2 shown]
	v_dual_mul_f32 v64, v18, v8 :: v_dual_mul_f32 v65, v36, v22
	v_mul_f32_e32 v8, v17, v8
	v_fmac_f32_e32 v58, v7, v16
	v_fmac_f32_e32 v56, v5, v12
	v_fma_f32 v12, v7, v15, -v57
	v_fma_f32 v15, v19, v21, -v59
	v_dual_fmac_f32 v60, v20, v21 :: v_dual_add_f32 v19, v23, v11
	v_fmac_f32_e32 v54, v3, v26
	v_fmac_f32_e32 v52, v1, v24
	v_fma_f32 v24, v3, v25, -v53
	v_mul_f32_e32 v22, v35, v22
	v_fma_f32 v16, v31, v1, -v61
	v_fmac_f32_e32 v2, v32, v1
	v_fma_f32 v1, v9, v3, -v62
	v_fmac_f32_e32 v4, v10, v3
	;; [unrolled: 2-line block ×4, first 2 shown]
	v_fma_f32 v7, v35, v21, -v65
	v_dual_add_f32 v9, v29, v24 :: v_dual_fmac_f32 v22, v36, v21
	v_dual_add_f32 v20, v11, v15 :: v_dual_sub_f32 v21, v56, v60
	v_add_f32_e32 v31, v1, v5
	s_delay_alu instid0(VALU_DEP_3)
	v_add_f32_e32 v9, v9, v12
	v_add_f32_e32 v17, v54, v58
	;; [unrolled: 1-line block ×4, first 2 shown]
	v_dual_add_f32 v51, v3, v7 :: v_dual_add_f32 v10, v24, v12
	v_sub_f32_e32 v53, v6, v22
	v_dual_sub_f32 v13, v54, v58 :: v_dual_add_f32 v26, v27, v1
	v_fmac_f32_e32 v23, -0.5, v20
	s_delay_alu instid0(VALU_DEP_4)
	v_fma_f32 v29, -0.5, v10, v29
	v_add_f32_e32 v14, v30, v54
	v_dual_sub_f32 v18, v24, v12 :: v_dual_sub_f32 v11, v11, v15
	v_dual_sub_f32 v1, v1, v5 :: v_dual_sub_f32 v32, v4, v8
	v_add_f32_e32 v4, v4, v8
	v_add_f32_e32 v54, v2, v6
	v_fmamk_f32 v20, v13, 0x3f5db3d7, v29
	v_fmac_f32_e32 v29, 0xbf5db3d7, v13
	v_fmamk_f32 v13, v21, 0x3f5db3d7, v23
	v_dual_fmac_f32 v23, 0xbf5db3d7, v21 :: v_dual_add_f32 v24, v52, v56
	v_add_f32_e32 v36, v16, v3
	v_sub_f32_e32 v3, v3, v7
	v_add_f32_e32 v12, v19, v15
	v_add_f32_e32 v10, v14, v58
	v_dual_fmac_f32 v16, -0.5, v51 :: v_dual_add_f32 v19, v54, v22
	v_add_f32_e32 v14, v24, v60
	v_fma_f32 v24, -0.5, v31, v27
	v_add_f32_e32 v15, v26, v5
	v_dual_fmac_f32 v30, -0.5, v17 :: v_dual_add_f32 v17, v35, v8
	v_fmac_f32_e32 v28, -0.5, v4
	v_add_f32_e32 v4, v36, v7
	v_fmac_f32_e32 v52, -0.5, v25
	v_dual_fmamk_f32 v25, v32, 0x3f5db3d7, v24 :: v_dual_add_f32 v6, v6, v22
	v_add_f32_e32 v5, v9, v12
	v_sub_f32_e32 v7, v9, v12
	v_dual_add_f32 v9, v15, v4 :: v_dual_fmamk_f32 v22, v18, 0xbf5db3d7, v30
	v_dual_fmac_f32 v30, 0x3f5db3d7, v18 :: v_dual_sub_f32 v35, v15, v4
	v_fmamk_f32 v18, v11, 0xbf5db3d7, v52
	v_fmac_f32_e32 v52, 0x3f5db3d7, v11
	v_fmac_f32_e32 v2, -0.5, v6
	v_sub_f32_e32 v36, v17, v19
	v_mul_f32_e32 v4, -0.5, v23
	v_add3_u32 v37, 0, v37, v46
	v_mul_f32_e32 v21, -0.5, v52
	v_fmamk_f32 v11, v3, 0xbf5db3d7, v2
	v_fmac_f32_e32 v2, 0x3f5db3d7, v3
	s_delay_alu instid0(VALU_DEP_3) | instskip(NEXT) | instid1(VALU_DEP_3)
	v_fmac_f32_e32 v21, 0xbf5db3d7, v23
	v_mul_f32_e32 v27, 0x3f5db3d7, v11
	s_delay_alu instid0(VALU_DEP_3)
	v_mul_f32_e32 v51, -0.5, v2
	v_mul_f32_e32 v3, 0x3f5db3d7, v18
	v_fmamk_f32 v26, v1, 0xbf5db3d7, v28
	v_fmac_f32_e32 v28, 0x3f5db3d7, v1
	v_dual_fmamk_f32 v1, v53, 0x3f5db3d7, v16 :: v_dual_add_f32 v6, v10, v14
	v_sub_f32_e32 v8, v10, v14
	v_dual_add_f32 v10, v17, v19 :: v_dual_mul_f32 v19, 0xbf5db3d7, v13
	s_delay_alu instid0(VALU_DEP_3) | instskip(SKIP_1) | instid1(VALU_DEP_3)
	v_fmac_f32_e32 v27, 0.5, v1
	v_dual_fmac_f32 v3, 0.5, v13 :: v_dual_fmac_f32 v24, 0xbf5db3d7, v32
	v_dual_mul_f32 v32, 0xbf5db3d7, v1 :: v_dual_fmac_f32 v19, 0.5, v18
	v_fmac_f32_e32 v4, 0x3f5db3d7, v52
	s_delay_alu instid0(VALU_DEP_3) | instskip(NEXT) | instid1(VALU_DEP_3)
	v_dual_fmac_f32 v16, 0xbf5db3d7, v53 :: v_dual_sub_f32 v15, v20, v3
	v_fmac_f32_e32 v32, 0.5, v11
	v_add_f32_e32 v11, v20, v3
	s_delay_alu instid0(VALU_DEP_4) | instskip(NEXT) | instid1(VALU_DEP_4)
	v_add_f32_e32 v13, v29, v4
	v_mul_f32_e32 v31, -0.5, v16
	v_dual_fmac_f32 v51, 0xbf5db3d7, v16 :: v_dual_add_f32 v12, v22, v19
	v_sub_f32_e32 v16, v22, v19
	v_add_f32_e32 v19, v25, v27
	v_sub_f32_e32 v17, v29, v4
	v_dual_fmac_f32 v31, 0x3f5db3d7, v2 :: v_dual_add_f32 v14, v30, v21
	v_dual_sub_f32 v18, v30, v21 :: v_dual_sub_f32 v1, v25, v27
	s_delay_alu instid0(VALU_DEP_2)
	v_dual_add_f32 v20, v26, v32 :: v_dual_sub_f32 v3, v24, v31
	v_add_f32_e32 v21, v24, v31
	v_add_f32_e32 v22, v28, v51
	v_sub_f32_e32 v2, v26, v32
	v_sub_f32_e32 v4, v28, v51
	ds_store_2addr_b64 v37, v[5:6], v[11:12] offset1:16
	ds_store_2addr_b64 v37, v[13:14], v[7:8] offset0:32 offset1:48
	ds_store_2addr_b64 v37, v[15:16], v[17:18] offset0:64 offset1:80
	ds_store_2addr_b64 v38, v[9:10], v[19:20] offset1:16
	ds_store_2addr_b64 v38, v[21:22], v[35:36] offset0:32 offset1:48
	ds_store_2addr_b64 v38, v[1:2], v[3:4] offset0:64 offset1:80
	global_wb scope:SCOPE_SE
	s_wait_dscnt 0x0
	s_barrier_signal -1
	s_barrier_wait -1
	global_inv scope:SCOPE_SE
	ds_load_2addr_stride64_b64 v[17:20], v47 offset1:3
	ds_load_2addr_stride64_b64 v[25:28], v47 offset0:6 offset1:12
	ds_load_b64 v[37:38], v49
	ds_load_2addr_stride64_b64 v[21:24], v47 offset0:15 offset1:18
	ds_load_2addr_stride64_b64 v[29:32], v47 offset0:21 offset1:24
                                        ; implicit-def: $vgpr6
                                        ; implicit-def: $vgpr16
                                        ; implicit-def: $vgpr12
	s_and_saveexec_b32 s15, vcc_lo
	s_cbranch_execz .LBB0_16
; %bb.15:
	v_add_nc_u32_e32 v13, 0x80, v47
	ds_load_b64 v[35:36], v50
	ds_load_2addr_stride64_b64 v[1:4], v13 offset0:5 offset1:8
	ds_load_2addr_stride64_b64 v[5:8], v13 offset0:11 offset1:14
	;; [unrolled: 1-line block ×4, first 2 shown]
.LBB0_16:
	s_wait_alu 0xfffe
	s_or_b32 exec_lo, exec_lo, s15
	v_mul_lo_u16 v51, v44, 22
	s_delay_alu instid0(VALU_DEP_1) | instskip(NEXT) | instid1(VALU_DEP_1)
	v_lshrrev_b16 v67, 8, v51
	v_mul_lo_u16 v51, v67, 12
	s_delay_alu instid0(VALU_DEP_1) | instskip(NEXT) | instid1(VALU_DEP_1)
	v_sub_nc_u16 v51, v44, v51
	v_and_b32_e32 v68, 0xff, v51
	s_delay_alu instid0(VALU_DEP_1)
	v_lshlrev_b32_e32 v63, 6, v68
	s_clause 0x3
	global_load_b128 v[51:54], v63, s[10:11] offset:80
	global_load_b128 v[55:58], v63, s[10:11] offset:96
	;; [unrolled: 1-line block ×4, first 2 shown]
	v_and_b32_e32 v67, 0xffff, v67
	global_wb scope:SCOPE_SE
	s_wait_loadcnt_dscnt 0x0
	s_barrier_signal -1
	s_barrier_wait -1
	global_inv scope:SCOPE_SE
	v_mul_f32_e32 v72, v54, v26
	v_mul_u32_u24_e32 v67, 0x6c, v67
	v_mul_f32_e32 v71, v52, v20
	v_mul_f32_e32 v52, v52, v19
	v_dual_mul_f32 v74, v58, v28 :: v_dual_mul_f32 v77, v64, v30
	s_delay_alu instid0(VALU_DEP_4) | instskip(NEXT) | instid1(VALU_DEP_4)
	v_add_lshl_u32 v67, v67, v68, 6
	v_fma_f32 v19, v51, v19, -v71
	v_mul_f32_e32 v64, v64, v29
	v_dual_mul_f32 v54, v54, v25 :: v_dual_mul_f32 v75, v60, v22
	s_delay_alu instid0(VALU_DEP_4) | instskip(SKIP_2) | instid1(VALU_DEP_4)
	v_add3_u32 v67, 0, v67, v46
	v_mul_f32_e32 v60, v60, v21
	v_mul_f32_e32 v73, v56, v38
	v_fma_f32 v21, v59, v21, -v75
	s_delay_alu instid0(VALU_DEP_4)
	v_add_nc_u32_e32 v69, 0x800, v67
	v_add_nc_u32_e32 v70, 0x1000, v67
	v_fmac_f32_e32 v54, v53, v26
	v_fma_f32 v26, v57, v27, -v74
	v_fmac_f32_e32 v52, v51, v20
	v_fma_f32 v20, v53, v25, -v72
	v_mul_f32_e32 v78, v66, v32
	v_mul_f32_e32 v66, v66, v31
	v_dual_sub_f32 v51, v26, v21 :: v_dual_add_nc_u32 v68, 0x400, v67
	v_fma_f32 v25, v55, v37, -v73
	s_delay_alu instid0(VALU_DEP_3)
	v_dual_add_f32 v53, v26, v21 :: v_dual_fmac_f32 v66, v65, v32
	v_mul_f32_e32 v58, v58, v27
	v_fma_f32 v27, v63, v29, -v77
	v_mul_f32_e32 v76, v62, v24
	v_fmac_f32_e32 v60, v59, v22
	v_mul_f32_e32 v62, v62, v23
	v_mul_f32_e32 v73, 0x3f7c1c5c, v51
	v_add_f32_e32 v29, v20, v27
	v_fma_f32 v22, v61, v23, -v76
	v_mul_f32_e32 v56, v56, v37
	v_sub_f32_e32 v27, v20, v27
	v_fma_f32 v23, v65, v31, -v78
	v_fmac_f32_e32 v62, v61, v24
	v_add_f32_e32 v31, v25, v22
	v_dual_fmac_f32 v56, v55, v38 :: v_dual_mul_f32 v61, 0xbf248dbb, v51
	s_delay_alu instid0(VALU_DEP_4) | instskip(SKIP_1) | instid1(VALU_DEP_4)
	v_add_f32_e32 v24, v19, v23
	v_sub_f32_e32 v23, v19, v23
	v_add_f32_e32 v19, v31, v17
	v_dual_sub_f32 v37, v52, v66 :: v_dual_fmac_f32 v58, v57, v28
	v_dual_add_f32 v28, v52, v66 :: v_dual_fmamk_f32 v75, v29, 0x3f441b7d, v17
	s_delay_alu instid0(VALU_DEP_4) | instskip(SKIP_1) | instid1(VALU_DEP_3)
	v_dual_mul_f32 v55, 0x3f248dbb, v23 :: v_dual_sub_f32 v22, v25, v22
	v_fmac_f32_e32 v61, 0x3f7c1c5c, v23
	v_fmamk_f32 v59, v28, 0x3f441b7d, v18
	v_dual_fmac_f32 v64, v63, v30 :: v_dual_add_f32 v71, v29, v24
	v_sub_f32_e32 v25, v56, v62
	v_fmamk_f32 v57, v24, 0x3f441b7d, v17
	v_add_f32_e32 v32, v56, v62
	s_delay_alu instid0(VALU_DEP_4)
	v_dual_add_f32 v30, v54, v64 :: v_dual_fmac_f32 v55, 0x3f7c1c5c, v27
	v_sub_f32_e32 v38, v54, v64
	v_mul_f32_e32 v56, 0x3f248dbb, v37
	v_fmamk_f32 v63, v53, 0x3f441b7d, v17
	v_dual_add_f32 v65, v51, v23 :: v_dual_sub_f32 v52, v58, v60
	v_dual_add_f32 v54, v58, v60 :: v_dual_add_f32 v77, v53, v71
	v_dual_add_f32 v72, v30, v28 :: v_dual_fmac_f32 v55, 0x3f5db3d7, v22
	v_fmac_f32_e32 v59, 0x3e31d0d4, v30
	v_fma_f32 v73, 0xbf248dbb, v27, -v73
	v_fmac_f32_e32 v57, 0x3e31d0d4, v29
	v_dual_fmamk_f32 v64, v54, 0x3f441b7d, v18 :: v_dual_sub_f32 v65, v65, v27
	s_delay_alu instid0(VALU_DEP_4) | instskip(NEXT) | instid1(VALU_DEP_3)
	v_fmac_f32_e32 v59, -0.5, v32
	v_dual_mul_f32 v62, 0xbf248dbb, v52 :: v_dual_fmac_f32 v57, -0.5, v31
	v_dual_add_f32 v66, v52, v37 :: v_dual_fmac_f32 v63, 0x3e31d0d4, v24
	v_dual_add_f32 v78, v54, v72 :: v_dual_fmac_f32 v61, 0xbf5db3d7, v22
	v_dual_add_f32 v71, v31, v71 :: v_dual_add_f32 v72, v32, v72
	v_fmac_f32_e32 v73, 0x3f5db3d7, v22
	v_fmac_f32_e32 v56, 0x3f7c1c5c, v38
	v_dual_add_f32 v20, v32, v18 :: v_dual_fmac_f32 v75, 0x3e31d0d4, v53
	v_dual_mul_f32 v74, 0x3f7c1c5c, v52 :: v_dual_fmac_f32 v63, -0.5, v31
	v_dual_fmamk_f32 v76, v30, 0x3f441b7d, v18 :: v_dual_fmac_f32 v19, -0.5, v77
	s_delay_alu instid0(VALU_DEP_3)
	v_dual_fmac_f32 v62, 0x3f7c1c5c, v37 :: v_dual_fmac_f32 v75, -0.5, v31
	v_dual_sub_f32 v66, v66, v38 :: v_dual_mul_f32 v79, 0x3f5db3d7, v65
	v_fmac_f32_e32 v56, 0x3f5db3d7, v25
	v_dual_add_f32 v22, v26, v71 :: v_dual_fmac_f32 v59, 0xbf708fb2, v54
	v_fmac_f32_e32 v64, 0x3e31d0d4, v28
	v_fma_f32 v74, 0xbf248dbb, v38, -v74
	v_fmac_f32_e32 v55, 0x3eaf1d44, v51
	v_fmac_f32_e32 v61, 0x3eaf1d44, v27
	v_dual_add_f32 v27, v21, v22 :: v_dual_fmac_f32 v62, 0xbf5db3d7, v25
	v_dual_fmac_f32 v64, -0.5, v32 :: v_dual_fmac_f32 v19, 0x3f5db3d7, v66
	v_fmac_f32_e32 v56, 0x3eaf1d44, v52
	v_fmac_f32_e32 v63, 0xbf708fb2, v29
	v_dual_fmac_f32 v75, 0xbf708fb2, v24 :: v_dual_sub_f32 v22, v59, v55
	s_delay_alu instid0(VALU_DEP_4) | instskip(SKIP_4) | instid1(VALU_DEP_3)
	v_dual_fmac_f32 v64, 0xbf708fb2, v30 :: v_dual_add_f32 v17, v17, v27
	v_fmac_f32_e32 v62, 0x3eaf1d44, v38
	v_dual_fmac_f32 v74, 0x3f5db3d7, v25 :: v_dual_add_f32 v25, v58, v72
	v_fmac_f32_e32 v76, 0x3e31d0d4, v54
	v_fmac_f32_e32 v73, 0x3eaf1d44, v23
	v_dual_add_f32 v23, v62, v63 :: v_dual_fmac_f32 v74, 0x3eaf1d44, v37
	s_delay_alu instid0(VALU_DEP_3) | instskip(SKIP_1) | instid1(VALU_DEP_3)
	v_dual_add_f32 v29, v60, v25 :: v_dual_fmac_f32 v76, -0.5, v32
	v_dual_fmac_f32 v20, -0.5, v78 :: v_dual_fmac_f32 v57, 0xbf708fb2, v53
	v_dual_add_f32 v27, v74, v75 :: v_dual_mul_f32 v80, 0x3f5db3d7, v66
	s_delay_alu instid0(VALU_DEP_3) | instskip(NEXT) | instid1(VALU_DEP_3)
	v_fmac_f32_e32 v76, 0xbf708fb2, v28
	v_fmac_f32_e32 v20, 0xbf5db3d7, v65
	s_delay_alu instid0(VALU_DEP_4)
	v_add_f32_e32 v21, v56, v57
	v_sub_f32_e32 v24, v64, v61
	v_add_f32_e32 v18, v18, v29
	v_sub_f32_e32 v28, v76, v73
	v_fma_f32 v37, -2.0, v74, v27
	v_fma_f32 v25, -2.0, v80, v19
	v_fma_f32 v26, 2.0, v79, v20
	v_fma_f32 v31, -2.0, v62, v23
	v_fma_f32 v38, 2.0, v73, v28
	v_fma_f32 v32, 2.0, v61, v24
	v_fma_f32 v29, -2.0, v56, v21
	v_fma_f32 v30, 2.0, v55, v22
	ds_store_2addr_b64 v67, v[17:18], v[21:22] offset1:96
	ds_store_2addr_b64 v68, v[23:24], v[19:20] offset0:64 offset1:160
	ds_store_2addr_b64 v69, v[27:28], v[37:38] offset0:128 offset1:224
	;; [unrolled: 1-line block ×3, first 2 shown]
	ds_store_b64 v67, v[29:30] offset:6144
	s_and_saveexec_b32 s15, vcc_lo
	s_cbranch_execz .LBB0_18
; %bb.17:
	v_and_b32_e32 v17, 0xff, v40
	s_delay_alu instid0(VALU_DEP_1) | instskip(NEXT) | instid1(VALU_DEP_1)
	v_mul_lo_u16 v17, 0xab, v17
	v_lshrrev_b16 v17, 11, v17
	s_delay_alu instid0(VALU_DEP_1) | instskip(NEXT) | instid1(VALU_DEP_1)
	v_mul_lo_u16 v17, v17, 12
	v_sub_nc_u16 v17, v40, v17
	s_delay_alu instid0(VALU_DEP_1) | instskip(NEXT) | instid1(VALU_DEP_1)
	v_lshlrev_b16 v17, 3, v17
	v_and_b32_e32 v17, 0xf8, v17
	s_delay_alu instid0(VALU_DEP_1)
	v_lshlrev_b32_e32 v37, 3, v17
	s_clause 0x3
	global_load_b128 v[17:20], v37, s[10:11] offset:80
	global_load_b128 v[21:24], v37, s[10:11] offset:128
	;; [unrolled: 1-line block ×4, first 2 shown]
	s_wait_loadcnt 0x3
	v_mul_f32_e32 v58, v4, v20
	v_add3_u32 v37, 0, v37, v46
	v_mul_f32_e32 v54, v2, v18
	s_wait_loadcnt 0x0
	v_dual_mul_f32 v61, v10, v30 :: v_dual_mul_f32 v20, v3, v20
	s_delay_alu instid0(VALU_DEP_3) | instskip(SKIP_3) | instid1(VALU_DEP_4)
	v_dual_mul_f32 v60, v8, v28 :: v_dual_add_nc_u32 v51, 0x2000, v37
	v_dual_mul_f32 v57, v12, v32 :: v_dual_add_nc_u32 v52, 0x2400, v37
	;; [unrolled: 1-line block ×3, first 2 shown]
	v_dual_mul_f32 v59, v14, v22 :: v_dual_mul_f32 v28, v7, v28
	v_fma_f32 v7, v7, v27, -v60
	v_fma_f32 v9, v9, v29, -v61
	v_dual_mul_f32 v55, v16, v24 :: v_dual_add_nc_u32 v38, 0x1800, v37
	v_mul_f32_e32 v18, v1, v18
	v_fma_f32 v1, v1, v17, -v54
	v_fmac_f32_e32 v30, v10, v29
	v_sub_f32_e32 v10, v7, v9
	v_fmac_f32_e32 v28, v8, v27
	v_mul_f32_e32 v32, v11, v32
	v_fma_f32 v11, v11, v31, -v57
	v_mul_f32_e32 v24, v15, v24
	v_mul_f32_e32 v56, v6, v26
	v_fmac_f32_e32 v18, v2, v17
	v_fma_f32 v15, v15, v23, -v55
	v_fma_f32 v3, v3, v19, -v58
	v_fmac_f32_e32 v24, v16, v23
	v_mul_f32_e32 v22, v13, v22
	v_fma_f32 v13, v13, v21, -v59
	v_mul_f32_e32 v26, v5, v26
	v_fma_f32 v5, v5, v25, -v56
	v_add_f32_e32 v17, v18, v24
	v_sub_f32_e32 v18, v18, v24
	v_fmac_f32_e32 v22, v14, v21
	v_sub_f32_e32 v8, v3, v13
	v_add_f32_e32 v13, v3, v13
	s_delay_alu instid0(VALU_DEP_4)
	v_dual_mul_f32 v57, 0x3f248dbb, v18 :: v_dual_fmac_f32 v26, v6, v25
	v_sub_f32_e32 v6, v5, v11
	v_add_f32_e32 v5, v5, v11
	v_add_f32_e32 v11, v1, v15
	v_mul_f32_e32 v3, 0x3f7c1c5c, v10
	v_sub_f32_e32 v21, v28, v30
	s_delay_alu instid0(VALU_DEP_1) | instskip(SKIP_1) | instid1(VALU_DEP_2)
	v_dual_fmac_f32 v20, v4, v19 :: v_dual_mul_f32 v23, 0x3f7c1c5c, v21
	v_add_f32_e32 v29, v21, v18
	v_add_f32_e32 v14, v20, v22
	v_sub_f32_e32 v20, v20, v22
	s_delay_alu instid0(VALU_DEP_1) | instskip(NEXT) | instid1(VALU_DEP_3)
	v_dual_add_f32 v22, v7, v9 :: v_dual_sub_f32 v29, v29, v20
	v_dual_sub_f32 v4, v1, v15 :: v_dual_fmamk_f32 v15, v14, 0x3f441b7d, v36
	v_dual_fmac_f32 v32, v12, v31 :: v_dual_add_f32 v25, v14, v17
	v_mul_f32_e32 v31, 0xbf248dbb, v10
	s_delay_alu instid0(VALU_DEP_3) | instskip(SKIP_1) | instid1(VALU_DEP_4)
	v_add_f32_e32 v27, v10, v4
	v_dual_fmamk_f32 v55, v22, 0x3f441b7d, v35 :: v_dual_add_f32 v12, v28, v30
	v_add_f32_e32 v16, v26, v32
	v_sub_f32_e32 v19, v26, v32
	s_delay_alu instid0(VALU_DEP_4)
	v_dual_sub_f32 v27, v27, v8 :: v_dual_fmamk_f32 v24, v13, 0x3f441b7d, v35
	v_dual_fmac_f32 v31, 0x3f7c1c5c, v4 :: v_dual_add_f32 v26, v13, v11
	v_fmac_f32_e32 v57, 0x3f7c1c5c, v20
	v_fma_f32 v58, 0xbf248dbb, v8, -v3
	v_fma_f32 v23, 0xbf248dbb, v20, -v23
	v_fmac_f32_e32 v55, 0x3e31d0d4, v11
	v_dual_add_f32 v59, v5, v26 :: v_dual_mul_f32 v56, 0x3f248dbb, v4
	v_add_f32_e32 v3, v16, v25
	v_dual_add_f32 v25, v12, v25 :: v_dual_fmac_f32 v24, 0x3e31d0d4, v22
	s_delay_alu instid0(VALU_DEP_4)
	v_dual_fmac_f32 v55, -0.5, v5 :: v_dual_add_f32 v2, v36, v16
	v_fmac_f32_e32 v23, 0x3f5db3d7, v19
	v_add_f32_e32 v1, v35, v5
	v_dual_mul_f32 v54, 0xbf248dbb, v21 :: v_dual_add_f32 v3, v28, v3
	v_dual_fmac_f32 v24, -0.5, v5 :: v_dual_fmac_f32 v31, 0xbf5db3d7, v6
	v_dual_add_f32 v7, v7, v59 :: v_dual_fmac_f32 v56, 0x3f7c1c5c, v8
	s_delay_alu instid0(VALU_DEP_3)
	v_dual_fmac_f32 v54, 0x3f7c1c5c, v18 :: v_dual_add_f32 v3, v30, v3
	v_dual_fmac_f32 v58, 0x3f5db3d7, v6 :: v_dual_fmac_f32 v57, 0x3f5db3d7, v19
	v_dual_fmac_f32 v2, -0.5, v25 :: v_dual_fmac_f32 v23, 0x3eaf1d44, v18
	v_dual_fmac_f32 v24, 0xbf708fb2, v11 :: v_dual_fmac_f32 v55, 0xbf708fb2, v13
	v_fmac_f32_e32 v56, 0x3f5db3d7, v6
	v_dual_add_f32 v6, v9, v7 :: v_dual_fmac_f32 v31, 0x3eaf1d44, v8
	v_fmac_f32_e32 v15, 0x3e31d0d4, v12
	v_fmamk_f32 v32, v12, 0x3f441b7d, v36
	v_dual_fmac_f32 v58, 0x3eaf1d44, v4 :: v_dual_fmac_f32 v57, 0x3eaf1d44, v21
	s_delay_alu instid0(VALU_DEP_4) | instskip(SKIP_3) | instid1(VALU_DEP_3)
	v_dual_add_f32 v4, v36, v3 :: v_dual_add_f32 v3, v35, v6
	v_dual_fmac_f32 v36, 0x3f441b7d, v17 :: v_dual_fmac_f32 v35, 0x3f441b7d, v11
	v_dual_add_f32 v26, v22, v26 :: v_dual_mul_f32 v25, 0x3f5db3d7, v29
	v_dual_fmac_f32 v15, -0.5, v16 :: v_dual_fmac_f32 v32, 0x3e31d0d4, v17
	v_fmac_f32_e32 v35, 0x3e31d0d4, v13
	s_delay_alu instid0(VALU_DEP_3) | instskip(SKIP_1) | instid1(VALU_DEP_4)
	v_dual_fmac_f32 v1, -0.5, v26 :: v_dual_fmac_f32 v54, 0xbf5db3d7, v19
	v_fmac_f32_e32 v36, 0x3e31d0d4, v14
	v_dual_fmac_f32 v32, -0.5, v16 :: v_dual_fmac_f32 v15, 0xbf708fb2, v17
	s_delay_alu instid0(VALU_DEP_4) | instskip(SKIP_1) | instid1(VALU_DEP_4)
	v_fmac_f32_e32 v35, -0.5, v5
	v_add_f32_e32 v5, v23, v24
	v_fmac_f32_e32 v36, -0.5, v16
	v_fmac_f32_e32 v56, 0x3eaf1d44, v10
	v_sub_f32_e32 v6, v15, v58
	v_fmac_f32_e32 v35, 0xbf708fb2, v22
	v_fmac_f32_e32 v54, 0x3eaf1d44, v20
	;; [unrolled: 1-line block ×3, first 2 shown]
	v_dual_mul_f32 v28, 0x3f5db3d7, v27 :: v_dual_fmac_f32 v1, 0x3f5db3d7, v29
	s_delay_alu instid0(VALU_DEP_4) | instskip(NEXT) | instid1(VALU_DEP_4)
	v_dual_add_f32 v13, v57, v35 :: v_dual_fmac_f32 v32, 0xbf708fb2, v14
	v_add_f32_e32 v9, v54, v55
	v_fmac_f32_e32 v2, 0xbf5db3d7, v27
	v_sub_f32_e32 v14, v36, v56
	v_fma_f32 v12, 2.0, v58, v6
	v_sub_f32_e32 v10, v32, v31
	v_fma_f32 v11, -2.0, v23, v5
	v_fma_f32 v8, 2.0, v28, v2
	v_fma_f32 v7, -2.0, v25, v1
	v_fma_f32 v15, -2.0, v54, v9
	v_fma_f32 v16, 2.0, v31, v10
	v_fma_f32 v18, 2.0, v56, v14
	v_fma_f32 v17, -2.0, v57, v13
	ds_store_2addr_b64 v38, v[3:4], v[13:14] offset0:96 offset1:192
	ds_store_2addr_b64 v51, v[9:10], v[1:2] offset0:32 offset1:128
	;; [unrolled: 1-line block ×4, first 2 shown]
	ds_store_b64 v37, v[17:18] offset:13056
.LBB0_18:
	s_wait_alu 0xfffe
	s_or_b32 exec_lo, exec_lo, s15
	v_cmp_gt_u64_e32 vcc_lo, s[12:13], v[33:34]
	global_wb scope:SCOPE_SE
	s_wait_dscnt 0x0
	s_barrier_signal -1
	s_barrier_wait -1
	global_inv scope:SCOPE_SE
	s_or_b32 s12, s14, vcc_lo
	s_wait_alu 0xfffe
	s_and_saveexec_b32 s13, s12
	s_cbranch_execz .LBB0_20
; %bb.19:
	v_subrev_nc_u32_e32 v1, 54, v44
	v_cmp_gt_u32_e32 vcc_lo, 0x1b0, v0
	v_dual_mov_b32 v2, 0 :: v_dual_add_nc_u32 v3, 0xffffffb8, v44
	s_load_b64 s[0:1], s[0:1], 0x8
	s_delay_alu instid0(VALU_DEP_1) | instskip(SKIP_3) | instid1(VALU_DEP_4)
	v_dual_cndmask_b32 v6, v1, v45 :: v_dual_mov_b32 v7, v2
	v_cmp_gt_u32_e32 vcc_lo, 0x240, v0
	v_dual_mov_b32 v14, v2 :: v_dual_add_nc_u32 v1, 0xffffffa6, v44
	v_mov_b32_e32 v9, v2
	v_mul_lo_u32 v28, v33, v6
	s_wait_alu 0xfffd
	v_cndmask_b32_e32 v8, v3, v43, vcc_lo
	v_lshlrev_b64_e32 v[3:4], 3, v[6:7]
	v_mov_b32_e32 v16, v2
	s_delay_alu instid0(VALU_DEP_3) | instskip(NEXT) | instid1(VALU_DEP_3)
	v_lshlrev_b64_e32 v[9:10], 3, v[8:9]
	v_add_co_u32 v3, vcc_lo, s10, v3
	s_wait_alu 0xfffd
	s_delay_alu instid0(VALU_DEP_4) | instskip(NEXT) | instid1(VALU_DEP_3)
	v_add_co_ci_u32_e32 v4, vcc_lo, s11, v4, vcc_lo
	v_add_co_u32 v9, vcc_lo, s10, v9
	s_wait_alu 0xfffd
	v_add_co_ci_u32_e32 v10, vcc_lo, s11, v10, vcc_lo
	v_cmp_gt_u32_e32 vcc_lo, 0x2d0, v0
	s_clause 0x1
	global_load_b64 v[11:12], v[3:4], off offset:848
	global_load_b64 v[9:10], v[9:10], off offset:848
	v_add_nc_u32_e32 v3, 0xffffff94, v44
	v_add_nc_u32_e32 v5, 0x6c, v6
	s_wait_alu 0xfffd
	v_cndmask_b32_e32 v13, v1, v40, vcc_lo
	v_cmp_gt_u32_e32 vcc_lo, 0x360, v0
	v_subrev_nc_u32_e32 v1, 36, v44
	v_mul_lo_u32 v5, v33, v5
	s_wait_alu 0xfffd
	v_cndmask_b32_e32 v15, v3, v44, vcc_lo
	v_lshlrev_b64_e32 v[3:4], 3, v[13:14]
	s_delay_alu instid0(VALU_DEP_2) | instskip(NEXT) | instid1(VALU_DEP_2)
	v_lshlrev_b64_e32 v[16:17], 3, v[15:16]
	v_add_co_u32 v3, vcc_lo, s10, v3
	s_wait_alu 0xfffd
	s_delay_alu instid0(VALU_DEP_3) | instskip(NEXT) | instid1(VALU_DEP_3)
	v_add_co_ci_u32_e32 v4, vcc_lo, s11, v4, vcc_lo
	v_add_co_u32 v16, vcc_lo, s10, v16
	s_wait_alu 0xfffd
	v_add_co_ci_u32_e32 v17, vcc_lo, s11, v17, vcc_lo
	v_cmp_gt_u32_e32 vcc_lo, 0x120, v0
	s_clause 0x1
	global_load_b64 v[18:19], v[3:4], off offset:848
	global_load_b64 v[16:17], v[16:17], off offset:848
	s_wait_alu 0xfffd
	v_cndmask_b32_e32 v1, v1, v41, vcc_lo
	s_delay_alu instid0(VALU_DEP_1) | instskip(NEXT) | instid1(VALU_DEP_1)
	v_mul_lo_u32 v4, v33, v1
	v_and_b32_e32 v14, 0xff, v4
	v_add_nc_u32_e32 v3, 0x6c, v1
	v_lshrrev_b32_e32 v4, 5, v4
	s_delay_alu instid0(VALU_DEP_3) | instskip(NEXT) | instid1(VALU_DEP_3)
	v_lshlrev_b32_e32 v14, 3, v14
	v_mul_lo_u32 v3, v33, v3
	s_delay_alu instid0(VALU_DEP_3) | instskip(SKIP_2) | instid1(VALU_DEP_4)
	v_and_b32_e32 v4, 0x7f8, v4
	v_mul_lo_u32 v38, v33, v13
	v_add_nc_u32_e32 v32, 0x6c, v13
	v_and_b32_e32 v7, 0xff, v3
	v_lshrrev_b32_e32 v3, 5, v3
	s_delay_alu instid0(VALU_DEP_2) | instskip(NEXT) | instid1(VALU_DEP_2)
	v_lshlrev_b32_e32 v7, 3, v7
	v_and_b32_e32 v3, 0x7f8, v3
	s_wait_kmcnt 0x0
	s_clause 0x1
	global_load_b64 v[20:21], v7, s[0:1]
	global_load_b64 v[22:23], v3, s[0:1] offset:2048
	v_and_b32_e32 v3, 0xff, v5
	v_lshrrev_b32_e32 v5, 5, v5
	s_clause 0x1
	global_load_b64 v[24:25], v14, s[0:1]
	global_load_b64 v[26:27], v4, s[0:1] offset:2048
	v_lshrrev_b32_e32 v7, 5, v28
	v_mul_lo_u32 v14, v33, v8
	v_lshlrev_b32_e32 v3, 3, v3
	v_and_b32_e32 v4, 0x7f8, v5
	v_and_b32_e32 v5, 0xff, v28
	s_clause 0x1
	global_load_b64 v[28:29], v3, s[0:1]
	global_load_b64 v[30:31], v4, s[0:1] offset:2048
	v_and_b32_e32 v4, 0x7f8, v7
	v_lshlrev_b32_e32 v3, 3, v5
	s_clause 0x1
	global_load_b64 v[34:35], v3, s[0:1]
	global_load_b64 v[36:37], v4, s[0:1] offset:2048
	v_add_nc_u32_e32 v3, 0x6c, v8
	v_and_b32_e32 v4, 0xff, v42
	v_sub_nc_u32_e32 v8, v43, v8
	s_delay_alu instid0(VALU_DEP_3) | instskip(NEXT) | instid1(VALU_DEP_3)
	v_mul_lo_u32 v3, v33, v3
	v_mul_lo_u16 v4, v4, 19
	s_delay_alu instid0(VALU_DEP_1) | instskip(NEXT) | instid1(VALU_DEP_3)
	v_lshrrev_b16 v4, 11, v4
	v_and_b32_e32 v5, 0xff, v3
	v_lshrrev_b32_e32 v7, 5, v3
	v_lshlrev_b64_e32 v[2:3], 3, v[1:2]
	s_delay_alu instid0(VALU_DEP_4) | instskip(NEXT) | instid1(VALU_DEP_4)
	v_mul_lo_u16 v4, 0x6c, v4
	v_lshlrev_b32_e32 v5, 3, v5
	s_delay_alu instid0(VALU_DEP_4)
	v_and_b32_e32 v7, 0x7f8, v7
	s_clause 0x1
	global_load_b64 v[51:52], v5, s[0:1]
	global_load_b64 v[53:54], v7, s[0:1] offset:2048
	v_add_co_u32 v2, vcc_lo, s10, v2
	s_wait_alu 0xfffd
	v_add_co_ci_u32_e32 v3, vcc_lo, s11, v3, vcc_lo
	v_mul_lo_u32 v7, v33, v32
	v_mul_lo_u32 v5, v33, v15
	v_sub_nc_u16 v4, v42, v4
	global_load_b64 v[55:56], v[2:3], off offset:848
	v_and_b32_e32 v2, 0xff, v14
	v_lshrrev_b32_e32 v3, 5, v14
	v_and_b32_e32 v14, 0xff, v38
	v_lshrrev_b32_e32 v38, 5, v38
	v_and_b32_e32 v61, 0xff, v7
	v_lshlrev_b32_e32 v2, 3, v2
	v_and_b32_e32 v3, 0x7f8, v3
	s_clause 0x1
	global_load_b64 v[57:58], v2, s[0:1]
	global_load_b64 v[59:60], v3, s[0:1] offset:2048
	v_add_nc_u32_e32 v8, v8, v43
	v_lshrrev_b32_e32 v7, 5, v7
	v_lshlrev_b32_e32 v2, 3, v61
	v_and_b32_e32 v85, 0xff, v4
	v_and_b32_e32 v38, 0x7f8, v38
	v_cmp_lt_u32_e32 vcc_lo, 0x35f, v0
	v_and_b32_e32 v3, 0x7f8, v7
	s_wait_alu 0xfffd
	v_cndmask_b32_e64 v0, 0, 0xd8, vcc_lo
	s_wait_loadcnt 0xb
	v_mul_f32_e32 v43, v20, v23
	v_add_nc_u32_e32 v44, 0x6c, v15
	v_lshlrev_b32_e32 v14, 3, v14
	s_delay_alu instid0(VALU_DEP_3) | instskip(NEXT) | instid1(VALU_DEP_3)
	v_fmac_f32_e32 v43, v21, v22
	v_mul_lo_u32 v32, v33, v44
	v_and_b32_e32 v44, 0xff, v5
	v_lshrrev_b32_e32 v5, 5, v5
	s_delay_alu instid0(VALU_DEP_2) | instskip(NEXT) | instid1(VALU_DEP_4)
	v_lshlrev_b32_e32 v7, 3, v44
	v_and_b32_e32 v62, 0xff, v32
	v_lshrrev_b32_e32 v32, 5, v32
	s_delay_alu instid0(VALU_DEP_2)
	v_lshlrev_b32_e32 v4, 3, v62
	s_clause 0x1
	global_load_b64 v[61:62], v2, s[0:1]
	global_load_b64 v[63:64], v3, s[0:1] offset:2048
	v_and_b32_e32 v2, 0x7f8, v32
	v_and_b32_e32 v3, 0x7f8, v5
	v_lshlrev_b32_e32 v5, 3, v85
	s_clause 0x5
	global_load_b64 v[65:66], v14, s[0:1]
	global_load_b64 v[67:68], v38, s[0:1] offset:2048
	global_load_b64 v[69:70], v4, s[0:1]
	global_load_b64 v[71:72], v2, s[0:1] offset:2048
	;; [unrolled: 2-line block ×3, first 2 shown]
	global_load_b64 v[77:78], v5, s[10:11] offset:848
	v_add_nc_u32_e32 v2, 0x6c, v85
	v_mul_lo_u32 v3, v33, v85
	s_delay_alu instid0(VALU_DEP_2) | instskip(NEXT) | instid1(VALU_DEP_2)
	v_mul_lo_u32 v2, v33, v2
	v_and_b32_e32 v5, 0xff, v3
	v_lshrrev_b32_e32 v3, 5, v3
	s_delay_alu instid0(VALU_DEP_3) | instskip(SKIP_1) | instid1(VALU_DEP_4)
	v_and_b32_e32 v4, 0xff, v2
	v_lshrrev_b32_e32 v2, 5, v2
	v_lshlrev_b32_e32 v5, 3, v5
	s_delay_alu instid0(VALU_DEP_4) | instskip(NEXT) | instid1(VALU_DEP_4)
	v_and_b32_e32 v3, 0x7f8, v3
	v_lshlrev_b32_e32 v4, 3, v4
	s_delay_alu instid0(VALU_DEP_4)
	v_and_b32_e32 v2, 0x7f8, v2
	s_clause 0x3
	global_load_b64 v[32:33], v4, s[0:1]
	global_load_b64 v[79:80], v2, s[0:1] offset:2048
	global_load_b64 v[81:82], v5, s[0:1]
	global_load_b64 v[83:84], v3, s[0:1] offset:2048
	v_add_nc_u32_e32 v2, 0x2400, v47
	s_lshl_b64 s[0:1], s[8:9], 3
	s_delay_alu instid0(SALU_CYCLE_1)
	s_add_nc_u64 s[0:1], s[2:3], s[0:1]
	ds_load_2addr_b64 v[2:5], v2 offset1:144
	s_wait_dscnt 0x0
	v_mul_f32_e32 v7, v12, v5
	v_mul_f32_e32 v38, v12, v4
	;; [unrolled: 1-line block ×4, first 2 shown]
	s_delay_alu instid0(VALU_DEP_4)
	v_fma_f32 v86, v11, v4, -v7
	v_add_nc_u32_e32 v12, 0x1800, v47
	v_fmac_f32_e32 v38, v11, v5
	v_fmac_f32_e32 v44, v9, v3
	v_fma_f32 v87, v9, v2, -v10
	ds_load_2addr_b64 v[2:5], v12 offset0:96 offset1:240
	v_mad_co_u64_u32 v[11:12], null, s6, v39, 0
	s_wait_dscnt 0x0
	v_mul_f32_e32 v88, v19, v4
	v_mul_f32_e32 v7, v19, v5
	;; [unrolled: 1-line block ×3, first 2 shown]
	s_delay_alu instid0(VALU_DEP_3) | instskip(NEXT) | instid1(VALU_DEP_3)
	v_dual_mul_f32 v9, v17, v3 :: v_dual_fmac_f32 v88, v18, v5
	v_fma_f32 v90, v18, v4, -v7
	v_add_nc_u32_e32 v4, 0x2c00, v47
	v_lshlrev_b32_e32 v5, 6, v45
	v_fmac_f32_e32 v89, v16, v3
	v_fma_f32 v91, v16, v2, -v9
	ds_load_b64 v[9:10], v50
	ds_load_b64 v[16:17], v49
	;; [unrolled: 1-line block ×4, first 2 shown]
	v_lshlrev_b32_e32 v14, 6, v42
	s_wait_loadcnt 0x16
	v_mul_f32_e32 v50, v24, v27
	s_delay_alu instid0(VALU_DEP_2)
	v_add3_u32 v49, 0, v14, v46
	v_add3_u32 v46, 0, v5, v46
	v_dual_mov_b32 v0, v12 :: v_dual_add_nc_u32 v5, v15, v0
	v_sub_nc_u32_e32 v12, v40, v13
	v_sub_nc_u32_e32 v13, v45, v6
	v_fmac_f32_e32 v50, v25, v26
	s_delay_alu instid0(VALU_DEP_4)
	v_mad_co_u64_u32 v[6:7], null, s4, v5, 0
	v_mad_co_u64_u32 v[2:3], null, s7, v39, v[0:1]
	v_dual_mul_f32 v0, v21, v23 :: v_dual_add_nc_u32 v39, v12, v40
	v_mul_f32_e32 v3, v25, v27
	v_add_nc_u32_e32 v40, v13, v45
	v_add_nc_u32_e32 v15, 0x6c, v5
	s_delay_alu instid0(VALU_DEP_4)
	v_add_nc_u32_e32 v92, 0x6c, v39
	v_fma_f32 v45, v20, v22, -v0
	v_mad_co_u64_u32 v[20:21], null, s4, v39, 0
	v_fma_f32 v93, v24, v26, -v3
	s_wait_loadcnt 0x14
	v_dual_mul_f32 v3, v29, v31 :: v_dual_mov_b32 v0, v7
	v_mov_b32_e32 v12, v2
	v_mad_co_u64_u32 v[13:14], null, s4, v15, 0
	s_delay_alu instid0(VALU_DEP_3) | instskip(NEXT) | instid1(VALU_DEP_4)
	v_fma_f32 v94, v28, v30, -v3
	v_mad_co_u64_u32 v[2:3], null, s5, v5, v[0:1]
	v_mov_b32_e32 v3, v21
	s_wait_loadcnt 0x12
	v_mul_f32_e32 v7, v35, v37
	v_mad_co_u64_u32 v[24:25], null, s4, v92, 0
	v_mov_b32_e32 v0, v14
	v_mad_co_u64_u32 v[26:27], null, s5, v39, v[3:4]
	s_wait_loadcnt 0xd
	v_mul_f32_e32 v39, v57, v60
	v_mad_co_u64_u32 v[22:23], null, s4, v8, 0
	v_mad_co_u64_u32 v[14:15], null, s5, v15, v[0:1]
	v_fma_f32 v95, v34, v36, -v7
	v_mov_b32_e32 v7, v2
	ds_load_2addr_b64 v[2:5], v4 offset0:32 offset1:176
	v_dual_mul_f32 v31, v28, v31 :: v_dual_mov_b32 v0, v23
	v_lshlrev_b64_e32 v[11:12], 3, v[11:12]
	v_mov_b32_e32 v21, v26
	v_lshlrev_b64_e32 v[6:7], 3, v[6:7]
	s_delay_alu instid0(VALU_DEP_4)
	v_fmac_f32_e32 v31, v29, v30
	v_mad_co_u64_u32 v[27:28], null, s5, v8, v[0:1]
	v_add_nc_u32_e32 v8, 0x6c, v8
	v_dual_mov_b32 v0, v25 :: v_dual_mul_f32 v15, v52, v54
	v_lshlrev_b64_e32 v[13:14], 3, v[13:14]
	v_lshlrev_b64_e32 v[20:21], 3, v[20:21]
	s_delay_alu instid0(VALU_DEP_4) | instskip(NEXT) | instid1(VALU_DEP_4)
	v_mad_co_u64_u32 v[28:29], null, s4, v8, 0
	v_mad_co_u64_u32 v[25:26], null, s5, v92, v[0:1]
	v_add_co_u32 v92, vcc_lo, s0, v11
	s_wait_alu 0xfffd
	v_add_co_ci_u32_e32 v96, vcc_lo, s1, v12, vcc_lo
	ds_load_b64 v[11:12], v46
	v_mov_b32_e32 v0, v29
	ds_load_b64 v[29:30], v49
	v_add_co_u32 v6, vcc_lo, v92, v6
	v_mov_b32_e32 v23, v27
	v_mad_co_u64_u32 v[26:27], null, s5, v8, v[0:1]
	v_fma_f32 v0, v51, v53, -v15
	s_wait_dscnt 0x2
	v_mul_f32_e32 v15, v56, v3
	s_wait_alu 0xfffd
	v_add_co_ci_u32_e32 v7, vcc_lo, v96, v7, vcc_lo
	v_add_co_u32 v13, vcc_lo, v92, v13
	s_wait_alu 0xfffd
	v_add_co_ci_u32_e32 v14, vcc_lo, v96, v14, vcc_lo
	v_dual_mul_f32 v37, v34, v37 :: v_dual_mul_f32 v8, v56, v2
	v_fma_f32 v15, v55, v2, -v15
	v_add_co_u32 v2, vcc_lo, v92, v20
	v_mul_f32_e32 v20, v58, v60
	s_delay_alu instid0(VALU_DEP_4)
	v_fmac_f32_e32 v37, v35, v36
	v_mul_f32_e32 v36, v51, v54
	v_fmac_f32_e32 v8, v55, v3
	s_wait_alu 0xfffd
	v_add_co_ci_u32_e32 v3, vcc_lo, v96, v21, vcc_lo
	v_sub_f32_e32 v15, v16, v15
	s_wait_dscnt 0x1
	v_dual_sub_f32 v21, v12, v38 :: v_dual_sub_f32 v38, v19, v44
	v_fma_f32 v54, v57, v59, -v20
	v_fmac_f32_e32 v39, v58, v59
	v_dual_sub_f32 v55, v47, v91 :: v_dual_fmac_f32 v36, v52, v53
	v_dual_sub_f32 v8, v17, v8 :: v_dual_sub_f32 v27, v11, v86
	v_dual_sub_f32 v51, v10, v88 :: v_dual_sub_f32 v52, v9, v90
	v_sub_f32_e32 v53, v48, v89
	v_fma_f32 v19, v19, 2.0, -v38
	s_delay_alu instid0(VALU_DEP_4)
	v_fma_f32 v17, v17, 2.0, -v8
	v_sub_f32_e32 v49, v18, v87
	v_fma_f32 v12, v12, 2.0, -v21
	v_fma_f32 v48, v48, 2.0, -v53
	v_mad_co_u64_u32 v[34:35], null, s4, v40, 0
	v_lshlrev_b64_e32 v[24:25], 3, v[24:25]
	s_wait_loadcnt 0xb
	v_mul_f32_e32 v20, v62, v64
	v_mul_f32_e32 v44, v61, v64
	s_wait_loadcnt 0x7
	v_mul_f32_e32 v58, v69, v72
	v_fma_f32 v64, v11, 2.0, -v27
	v_dual_mul_f32 v11, v27, v31 :: v_dual_mul_f32 v46, v66, v68
	v_mul_f32_e32 v56, v65, v68
	v_fma_f32 v57, v61, v63, -v20
	v_fmac_f32_e32 v44, v62, v63
	s_wait_loadcnt 0x4
	v_dual_mul_f32 v59, v74, v76 :: v_dual_mul_f32 v62, v4, v78
	v_mul_f32_e32 v60, v73, v76
	v_fma_f32 v61, v65, v67, -v46
	v_mul_f32_e32 v46, v5, v78
	v_fma_f32 v63, v16, 2.0, -v15
	v_mul_f32_e32 v20, v70, v72
	v_fma_f32 v47, v47, 2.0, -v55
	v_dual_fmac_f32 v62, v5, v77 :: v_dual_mul_f32 v5, v15, v43
	v_fmac_f32_e32 v56, v66, v67
	v_fma_f32 v66, v10, 2.0, -v51
	v_fma_f32 v67, v9, 2.0, -v52
	v_fma_f32 v10, v4, v77, -v46
	v_mul_f32_e32 v9, v63, v50
	v_fma_f32 v68, v69, v71, -v20
	v_mul_f32_e32 v4, v8, v43
	v_dual_mul_f32 v31, v21, v31 :: v_dual_mul_f32 v16, v64, v37
	v_mul_f32_e32 v69, v19, v39
	v_dual_fmac_f32 v60, v74, v75 :: v_dual_fmac_f32 v5, v8, v45
	v_fmac_f32_e32 v9, v17, v93
	v_fma_f32 v4, v15, v45, -v4
	v_fma_f32 v65, v18, 2.0, -v49
	s_delay_alu instid0(VALU_DEP_4)
	v_mul_f32_e32 v46, v47, v60
	s_wait_dscnt 0x0
	v_dual_mul_f32 v45, v48, v60 :: v_dual_sub_f32 v60, v30, v62
	v_sub_f32_e32 v62, v29, v10
	v_fma_f32 v10, v27, v94, -v31
	s_wait_loadcnt 0x0
	v_mul_f32_e32 v27, v81, v84
	v_fma_f32 v59, v73, v75, -v59
	v_dual_mul_f32 v43, v17, v50 :: v_dual_fmac_f32 v58, v70, v71
	v_dual_mul_f32 v50, v12, v37 :: v_dual_fmac_f32 v11, v21, v94
	v_mul_f32_e32 v37, v52, v44
	v_mul_f32_e32 v18, v49, v36
	v_dual_mul_f32 v70, v51, v44 :: v_dual_fmac_f32 v27, v82, v83
	v_fma_f32 v21, v29, 2.0, -v62
	v_mul_f32_e32 v36, v38, v36
	v_dual_mul_f32 v20, v65, v39 :: v_dual_mul_f32 v39, v67, v56
	v_dual_mul_f32 v44, v55, v58 :: v_dual_mul_f32 v29, v33, v80
	v_dual_fmac_f32 v37, v51, v57 :: v_dual_fmac_f32 v18, v38, v0
	v_fmac_f32_e32 v46, v48, v59
	v_fma_f32 v45, v47, v59, -v45
	v_mul_f32_e32 v31, v21, v27
	v_fma_f32 v17, v49, v0, -v36
	v_fma_f32 v0, v30, 2.0, -v60
	v_mul_f32_e32 v30, v82, v84
	v_fmac_f32_e32 v16, v12, v95
	v_mul_f32_e32 v12, v32, v80
	global_store_b64 v[6:7], v[45:46], off
	v_fma_f32 v6, v32, v79, -v29
	v_fma_f32 v29, v81, v83, -v30
	v_dual_mul_f32 v56, v66, v56 :: v_dual_mul_f32 v27, v0, v27
	v_fmac_f32_e32 v12, v33, v79
	v_fma_f32 v8, v63, v93, -v43
	s_delay_alu instid0(VALU_DEP_4) | instskip(SKIP_1) | instid1(VALU_DEP_4)
	v_dual_fmac_f32 v31, v0, v29 :: v_dual_mul_f32 v58, v53, v58
	v_fmac_f32_e32 v39, v66, v61
	v_mul_f32_e32 v7, v62, v12
	v_fma_f32 v38, v67, v61, -v56
	v_fmac_f32_e32 v44, v53, v68
	v_fma_f32 v43, v55, v68, -v58
	v_mul_f32_e32 v12, v60, v12
	v_mov_b32_e32 v0, v35
	v_fma_f32 v30, v21, v29, -v27
	v_mov_b32_e32 v29, v26
	s_clause 0x1
	global_store_b64 v[13:14], v[43:44], off
	global_store_b64 v[2:3], v[38:39], off
	v_lshlrev_b64_e32 v[2:3], 3, v[22:23]
	v_fmac_f32_e32 v7, v60, v6
	v_fma_f32 v6, v62, v6, -v12
	v_add_co_u32 v12, vcc_lo, v92, v24
	v_mad_co_u64_u32 v[23:24], null, s5, v40, v[0:1]
	v_lshlrev_b64_e32 v[21:22], 3, v[28:29]
	v_sub_nc_u32_e32 v24, v41, v1
	s_wait_alu 0xfffd
	v_add_co_ci_u32_e32 v13, vcc_lo, v96, v25, vcc_lo
	v_add_co_u32 v2, vcc_lo, v92, v2
	s_wait_alu 0xfffd
	v_add_co_ci_u32_e32 v3, vcc_lo, v96, v3, vcc_lo
	v_fmac_f32_e32 v20, v19, v54
	v_fma_f32 v36, v52, v57, -v70
	v_add_nc_u32_e32 v14, 0x6c, v40
	v_add_co_u32 v0, vcc_lo, v92, v21
	v_mov_b32_e32 v35, v23
	v_add_nc_u32_e32 v23, v24, v41
	v_fma_f32 v19, v65, v54, -v69
	s_wait_alu 0xfffd
	v_add_co_ci_u32_e32 v1, vcc_lo, v96, v22, vcc_lo
	v_mad_co_u64_u32 v[21:22], null, s4, v14, 0
	s_clause 0x2
	global_store_b64 v[12:13], v[36:37], off
	global_store_b64 v[2:3], v[19:20], off
	;; [unrolled: 1-line block ×3, first 2 shown]
	v_mad_co_u64_u32 v[12:13], null, s4, v23, 0
	v_add_nc_u32_e32 v24, 0x6c, v23
	v_sub_nc_u32_e32 v19, v42, v85
	v_lshlrev_b64_e32 v[0:1], 3, v[34:35]
	v_mov_b32_e32 v2, v22
	v_fma_f32 v15, v64, v95, -v50
	v_mad_co_u64_u32 v[17:18], null, s4, v24, 0
	v_dual_mov_b32 v3, v13 :: v_dual_add_nc_u32 v26, v19, v42
	v_add_co_u32 v0, vcc_lo, v92, v0
	s_wait_alu 0xfffd
	v_add_co_ci_u32_e32 v1, vcc_lo, v96, v1, vcc_lo
	s_delay_alu instid0(VALU_DEP_3) | instskip(SKIP_3) | instid1(VALU_DEP_4)
	v_mad_co_u64_u32 v[13:14], null, s5, v14, v[2:3]
	v_mad_co_u64_u32 v[2:3], null, s5, v23, v[3:4]
	v_mov_b32_e32 v3, v18
	v_mad_co_u64_u32 v[19:20], null, s4, v26, 0
	v_dual_mov_b32 v22, v13 :: v_dual_add_nc_u32 v27, 0x6c, v26
	s_delay_alu instid0(VALU_DEP_3)
	v_mad_co_u64_u32 v[23:24], null, s5, v24, v[3:4]
	global_store_b64 v[0:1], v[15:16], off
	v_mad_co_u64_u32 v[24:25], null, s4, v27, 0
	v_mov_b32_e32 v0, v20
	v_lshlrev_b64_e32 v[14:15], 3, v[21:22]
	v_dual_mov_b32 v13, v2 :: v_dual_mov_b32 v18, v23
	s_delay_alu instid0(VALU_DEP_3) | instskip(SKIP_1) | instid1(VALU_DEP_4)
	v_mad_co_u64_u32 v[0:1], null, s5, v26, v[0:1]
	v_mov_b32_e32 v1, v25
	v_add_co_u32 v2, vcc_lo, v92, v14
	s_wait_alu 0xfffd
	v_add_co_ci_u32_e32 v3, vcc_lo, v96, v15, vcc_lo
	v_lshlrev_b64_e32 v[12:13], 3, v[12:13]
	s_delay_alu instid0(VALU_DEP_3) | instskip(SKIP_2) | instid1(VALU_DEP_4)
	v_mad_co_u64_u32 v[14:15], null, s5, v27, v[1:2]
	v_lshlrev_b64_e32 v[15:16], 3, v[17:18]
	v_mov_b32_e32 v20, v0
	v_add_co_u32 v0, vcc_lo, v92, v12
	s_wait_alu 0xfffd
	v_add_co_ci_u32_e32 v1, vcc_lo, v96, v13, vcc_lo
	v_mov_b32_e32 v25, v14
	v_lshlrev_b64_e32 v[12:13], 3, v[19:20]
	v_add_co_u32 v14, vcc_lo, v92, v15
	s_wait_alu 0xfffd
	v_add_co_ci_u32_e32 v15, vcc_lo, v96, v16, vcc_lo
	v_lshlrev_b64_e32 v[16:17], 3, v[24:25]
	s_delay_alu instid0(VALU_DEP_4) | instskip(SKIP_2) | instid1(VALU_DEP_3)
	v_add_co_u32 v12, vcc_lo, v92, v12
	s_wait_alu 0xfffd
	v_add_co_ci_u32_e32 v13, vcc_lo, v96, v13, vcc_lo
	v_add_co_u32 v16, vcc_lo, v92, v16
	s_wait_alu 0xfffd
	v_add_co_ci_u32_e32 v17, vcc_lo, v96, v17, vcc_lo
	s_clause 0x4
	global_store_b64 v[2:3], v[10:11], off
	global_store_b64 v[0:1], v[8:9], off
	;; [unrolled: 1-line block ×5, first 2 shown]
.LBB0_20:
	s_nop 0
	s_sendmsg sendmsg(MSG_DEALLOC_VGPRS)
	s_endpgm
	.section	.rodata,"a",@progbits
	.p2align	6, 0x0
	.amdhsa_kernel fft_rtc_fwd_len216_factors_2_6_9_2_wgs_144_tpt_18_dim3_sp_ip_CI_sbcc_twdbase8_2step_dirReg
		.amdhsa_group_segment_fixed_size 0
		.amdhsa_private_segment_fixed_size 0
		.amdhsa_kernarg_size 88
		.amdhsa_user_sgpr_count 2
		.amdhsa_user_sgpr_dispatch_ptr 0
		.amdhsa_user_sgpr_queue_ptr 0
		.amdhsa_user_sgpr_kernarg_segment_ptr 1
		.amdhsa_user_sgpr_dispatch_id 0
		.amdhsa_user_sgpr_private_segment_size 0
		.amdhsa_wavefront_size32 1
		.amdhsa_uses_dynamic_stack 0
		.amdhsa_enable_private_segment 0
		.amdhsa_system_sgpr_workgroup_id_x 1
		.amdhsa_system_sgpr_workgroup_id_y 0
		.amdhsa_system_sgpr_workgroup_id_z 0
		.amdhsa_system_sgpr_workgroup_info 0
		.amdhsa_system_vgpr_workitem_id 0
		.amdhsa_next_free_vgpr 97
		.amdhsa_next_free_sgpr 26
		.amdhsa_reserve_vcc 1
		.amdhsa_float_round_mode_32 0
		.amdhsa_float_round_mode_16_64 0
		.amdhsa_float_denorm_mode_32 3
		.amdhsa_float_denorm_mode_16_64 3
		.amdhsa_fp16_overflow 0
		.amdhsa_workgroup_processor_mode 1
		.amdhsa_memory_ordered 1
		.amdhsa_forward_progress 0
		.amdhsa_round_robin_scheduling 0
		.amdhsa_exception_fp_ieee_invalid_op 0
		.amdhsa_exception_fp_denorm_src 0
		.amdhsa_exception_fp_ieee_div_zero 0
		.amdhsa_exception_fp_ieee_overflow 0
		.amdhsa_exception_fp_ieee_underflow 0
		.amdhsa_exception_fp_ieee_inexact 0
		.amdhsa_exception_int_div_zero 0
	.end_amdhsa_kernel
	.text
.Lfunc_end0:
	.size	fft_rtc_fwd_len216_factors_2_6_9_2_wgs_144_tpt_18_dim3_sp_ip_CI_sbcc_twdbase8_2step_dirReg, .Lfunc_end0-fft_rtc_fwd_len216_factors_2_6_9_2_wgs_144_tpt_18_dim3_sp_ip_CI_sbcc_twdbase8_2step_dirReg
                                        ; -- End function
	.section	.AMDGPU.csdata,"",@progbits
; Kernel info:
; codeLenInByte = 9196
; NumSgprs: 28
; NumVgprs: 97
; ScratchSize: 0
; MemoryBound: 0
; FloatMode: 240
; IeeeMode: 1
; LDSByteSize: 0 bytes/workgroup (compile time only)
; SGPRBlocks: 3
; VGPRBlocks: 12
; NumSGPRsForWavesPerEU: 28
; NumVGPRsForWavesPerEU: 97
; Occupancy: 12
; WaveLimiterHint : 1
; COMPUTE_PGM_RSRC2:SCRATCH_EN: 0
; COMPUTE_PGM_RSRC2:USER_SGPR: 2
; COMPUTE_PGM_RSRC2:TRAP_HANDLER: 0
; COMPUTE_PGM_RSRC2:TGID_X_EN: 1
; COMPUTE_PGM_RSRC2:TGID_Y_EN: 0
; COMPUTE_PGM_RSRC2:TGID_Z_EN: 0
; COMPUTE_PGM_RSRC2:TIDIG_COMP_CNT: 0
	.text
	.p2alignl 7, 3214868480
	.fill 96, 4, 3214868480
	.type	__hip_cuid_7c99239bc0beda00,@object ; @__hip_cuid_7c99239bc0beda00
	.section	.bss,"aw",@nobits
	.globl	__hip_cuid_7c99239bc0beda00
__hip_cuid_7c99239bc0beda00:
	.byte	0                               ; 0x0
	.size	__hip_cuid_7c99239bc0beda00, 1

	.ident	"AMD clang version 19.0.0git (https://github.com/RadeonOpenCompute/llvm-project roc-6.4.0 25133 c7fe45cf4b819c5991fe208aaa96edf142730f1d)"
	.section	".note.GNU-stack","",@progbits
	.addrsig
	.addrsig_sym __hip_cuid_7c99239bc0beda00
	.amdgpu_metadata
---
amdhsa.kernels:
  - .args:
      - .actual_access:  read_only
        .address_space:  global
        .offset:         0
        .size:           8
        .value_kind:     global_buffer
      - .address_space:  global
        .offset:         8
        .size:           8
        .value_kind:     global_buffer
      - .actual_access:  read_only
        .address_space:  global
        .offset:         16
        .size:           8
        .value_kind:     global_buffer
      - .actual_access:  read_only
        .address_space:  global
        .offset:         24
        .size:           8
        .value_kind:     global_buffer
      - .offset:         32
        .size:           8
        .value_kind:     by_value
      - .actual_access:  read_only
        .address_space:  global
        .offset:         40
        .size:           8
        .value_kind:     global_buffer
      - .actual_access:  read_only
        .address_space:  global
        .offset:         48
        .size:           8
        .value_kind:     global_buffer
      - .offset:         56
        .size:           4
        .value_kind:     by_value
      - .actual_access:  read_only
        .address_space:  global
        .offset:         64
        .size:           8
        .value_kind:     global_buffer
      - .actual_access:  read_only
        .address_space:  global
        .offset:         72
        .size:           8
        .value_kind:     global_buffer
      - .address_space:  global
        .offset:         80
        .size:           8
        .value_kind:     global_buffer
    .group_segment_fixed_size: 0
    .kernarg_segment_align: 8
    .kernarg_segment_size: 88
    .language:       OpenCL C
    .language_version:
      - 2
      - 0
    .max_flat_workgroup_size: 144
    .name:           fft_rtc_fwd_len216_factors_2_6_9_2_wgs_144_tpt_18_dim3_sp_ip_CI_sbcc_twdbase8_2step_dirReg
    .private_segment_fixed_size: 0
    .sgpr_count:     28
    .sgpr_spill_count: 0
    .symbol:         fft_rtc_fwd_len216_factors_2_6_9_2_wgs_144_tpt_18_dim3_sp_ip_CI_sbcc_twdbase8_2step_dirReg.kd
    .uniform_work_group_size: 1
    .uses_dynamic_stack: false
    .vgpr_count:     97
    .vgpr_spill_count: 0
    .wavefront_size: 32
    .workgroup_processor_mode: 1
amdhsa.target:   amdgcn-amd-amdhsa--gfx1201
amdhsa.version:
  - 1
  - 2
...

	.end_amdgpu_metadata
